;; amdgpu-corpus repo=ROCm/rocFFT kind=compiled arch=gfx1201 opt=O3
	.text
	.amdgcn_target "amdgcn-amd-amdhsa--gfx1201"
	.amdhsa_code_object_version 6
	.protected	fft_rtc_fwd_len1650_factors_11_2_3_5_5_wgs_110_tpt_110_halfLds_half_ip_CI_unitstride_sbrr_R2C_dirReg ; -- Begin function fft_rtc_fwd_len1650_factors_11_2_3_5_5_wgs_110_tpt_110_halfLds_half_ip_CI_unitstride_sbrr_R2C_dirReg
	.globl	fft_rtc_fwd_len1650_factors_11_2_3_5_5_wgs_110_tpt_110_halfLds_half_ip_CI_unitstride_sbrr_R2C_dirReg
	.p2align	8
	.type	fft_rtc_fwd_len1650_factors_11_2_3_5_5_wgs_110_tpt_110_halfLds_half_ip_CI_unitstride_sbrr_R2C_dirReg,@function
fft_rtc_fwd_len1650_factors_11_2_3_5_5_wgs_110_tpt_110_halfLds_half_ip_CI_unitstride_sbrr_R2C_dirReg: ; @fft_rtc_fwd_len1650_factors_11_2_3_5_5_wgs_110_tpt_110_halfLds_half_ip_CI_unitstride_sbrr_R2C_dirReg
; %bb.0:
	s_clause 0x2
	s_load_b128 s[4:7], s[0:1], 0x0
	s_load_b64 s[8:9], s[0:1], 0x50
	s_load_b64 s[10:11], s[0:1], 0x18
	v_mul_u32_u24_e32 v1, 0x254, v0
	v_mov_b32_e32 v3, 0
	s_delay_alu instid0(VALU_DEP_2) | instskip(NEXT) | instid1(VALU_DEP_1)
	v_lshrrev_b32_e32 v1, 16, v1
	v_add_nc_u32_e32 v5, ttmp9, v1
	v_mov_b32_e32 v1, 0
	v_mov_b32_e32 v2, 0
	;; [unrolled: 1-line block ×3, first 2 shown]
	s_wait_kmcnt 0x0
	v_cmp_lt_u64_e64 s2, s[6:7], 2
	s_delay_alu instid0(VALU_DEP_1)
	s_and_b32 vcc_lo, exec_lo, s2
	s_cbranch_vccnz .LBB0_8
; %bb.1:
	s_load_b64 s[2:3], s[0:1], 0x10
	v_mov_b32_e32 v1, 0
	v_mov_b32_e32 v2, 0
	s_add_nc_u64 s[12:13], s[10:11], 8
	s_mov_b64 s[14:15], 1
	s_wait_kmcnt 0x0
	s_add_nc_u64 s[16:17], s[2:3], 8
	s_mov_b32 s3, 0
.LBB0_2:                                ; =>This Inner Loop Header: Depth=1
	s_load_b64 s[18:19], s[16:17], 0x0
                                        ; implicit-def: $vgpr7_vgpr8
	s_mov_b32 s2, exec_lo
	s_wait_kmcnt 0x0
	v_or_b32_e32 v4, s19, v6
	s_delay_alu instid0(VALU_DEP_1)
	v_cmpx_ne_u64_e32 0, v[3:4]
	s_wait_alu 0xfffe
	s_xor_b32 s20, exec_lo, s2
	s_cbranch_execz .LBB0_4
; %bb.3:                                ;   in Loop: Header=BB0_2 Depth=1
	s_cvt_f32_u32 s2, s18
	s_cvt_f32_u32 s21, s19
	s_sub_nc_u64 s[24:25], 0, s[18:19]
	s_wait_alu 0xfffe
	s_delay_alu instid0(SALU_CYCLE_1) | instskip(SKIP_1) | instid1(SALU_CYCLE_2)
	s_fmamk_f32 s2, s21, 0x4f800000, s2
	s_wait_alu 0xfffe
	v_s_rcp_f32 s2, s2
	s_delay_alu instid0(TRANS32_DEP_1) | instskip(SKIP_1) | instid1(SALU_CYCLE_2)
	s_mul_f32 s2, s2, 0x5f7ffffc
	s_wait_alu 0xfffe
	s_mul_f32 s21, s2, 0x2f800000
	s_wait_alu 0xfffe
	s_delay_alu instid0(SALU_CYCLE_2) | instskip(SKIP_1) | instid1(SALU_CYCLE_2)
	s_trunc_f32 s21, s21
	s_wait_alu 0xfffe
	s_fmamk_f32 s2, s21, 0xcf800000, s2
	s_cvt_u32_f32 s23, s21
	s_wait_alu 0xfffe
	s_delay_alu instid0(SALU_CYCLE_1) | instskip(SKIP_1) | instid1(SALU_CYCLE_2)
	s_cvt_u32_f32 s22, s2
	s_wait_alu 0xfffe
	s_mul_u64 s[26:27], s[24:25], s[22:23]
	s_wait_alu 0xfffe
	s_mul_hi_u32 s29, s22, s27
	s_mul_i32 s28, s22, s27
	s_mul_hi_u32 s2, s22, s26
	s_mul_i32 s30, s23, s26
	s_wait_alu 0xfffe
	s_add_nc_u64 s[28:29], s[2:3], s[28:29]
	s_mul_hi_u32 s21, s23, s26
	s_mul_hi_u32 s31, s23, s27
	s_add_co_u32 s2, s28, s30
	s_wait_alu 0xfffe
	s_add_co_ci_u32 s2, s29, s21
	s_mul_i32 s26, s23, s27
	s_add_co_ci_u32 s27, s31, 0
	s_wait_alu 0xfffe
	s_add_nc_u64 s[26:27], s[2:3], s[26:27]
	s_wait_alu 0xfffe
	v_add_co_u32 v4, s2, s22, s26
	s_delay_alu instid0(VALU_DEP_1) | instskip(SKIP_1) | instid1(VALU_DEP_1)
	s_cmp_lg_u32 s2, 0
	s_add_co_ci_u32 s23, s23, s27
	v_readfirstlane_b32 s22, v4
	s_wait_alu 0xfffe
	s_delay_alu instid0(VALU_DEP_1)
	s_mul_u64 s[24:25], s[24:25], s[22:23]
	s_wait_alu 0xfffe
	s_mul_hi_u32 s27, s22, s25
	s_mul_i32 s26, s22, s25
	s_mul_hi_u32 s2, s22, s24
	s_mul_i32 s28, s23, s24
	s_wait_alu 0xfffe
	s_add_nc_u64 s[26:27], s[2:3], s[26:27]
	s_mul_hi_u32 s21, s23, s24
	s_mul_hi_u32 s22, s23, s25
	s_wait_alu 0xfffe
	s_add_co_u32 s2, s26, s28
	s_add_co_ci_u32 s2, s27, s21
	s_mul_i32 s24, s23, s25
	s_add_co_ci_u32 s25, s22, 0
	s_wait_alu 0xfffe
	s_add_nc_u64 s[24:25], s[2:3], s[24:25]
	s_wait_alu 0xfffe
	v_add_co_u32 v4, s2, v4, s24
	s_delay_alu instid0(VALU_DEP_1) | instskip(SKIP_1) | instid1(VALU_DEP_1)
	s_cmp_lg_u32 s2, 0
	s_add_co_ci_u32 s2, s23, s25
	v_mul_hi_u32 v13, v5, v4
	s_wait_alu 0xfffe
	v_mad_co_u64_u32 v[7:8], null, v5, s2, 0
	v_mad_co_u64_u32 v[9:10], null, v6, v4, 0
	;; [unrolled: 1-line block ×3, first 2 shown]
	s_delay_alu instid0(VALU_DEP_3) | instskip(SKIP_1) | instid1(VALU_DEP_4)
	v_add_co_u32 v4, vcc_lo, v13, v7
	s_wait_alu 0xfffd
	v_add_co_ci_u32_e32 v7, vcc_lo, 0, v8, vcc_lo
	s_delay_alu instid0(VALU_DEP_2) | instskip(SKIP_1) | instid1(VALU_DEP_2)
	v_add_co_u32 v4, vcc_lo, v4, v9
	s_wait_alu 0xfffd
	v_add_co_ci_u32_e32 v4, vcc_lo, v7, v10, vcc_lo
	s_wait_alu 0xfffd
	v_add_co_ci_u32_e32 v7, vcc_lo, 0, v12, vcc_lo
	s_delay_alu instid0(VALU_DEP_2) | instskip(SKIP_1) | instid1(VALU_DEP_2)
	v_add_co_u32 v4, vcc_lo, v4, v11
	s_wait_alu 0xfffd
	v_add_co_ci_u32_e32 v9, vcc_lo, 0, v7, vcc_lo
	s_delay_alu instid0(VALU_DEP_2) | instskip(SKIP_1) | instid1(VALU_DEP_3)
	v_mul_lo_u32 v10, s19, v4
	v_mad_co_u64_u32 v[7:8], null, s18, v4, 0
	v_mul_lo_u32 v11, s18, v9
	s_delay_alu instid0(VALU_DEP_2) | instskip(NEXT) | instid1(VALU_DEP_2)
	v_sub_co_u32 v7, vcc_lo, v5, v7
	v_add3_u32 v8, v8, v11, v10
	s_delay_alu instid0(VALU_DEP_1) | instskip(SKIP_1) | instid1(VALU_DEP_1)
	v_sub_nc_u32_e32 v10, v6, v8
	s_wait_alu 0xfffd
	v_subrev_co_ci_u32_e64 v10, s2, s19, v10, vcc_lo
	v_add_co_u32 v11, s2, v4, 2
	s_wait_alu 0xf1ff
	v_add_co_ci_u32_e64 v12, s2, 0, v9, s2
	v_sub_co_u32 v13, s2, v7, s18
	v_sub_co_ci_u32_e32 v8, vcc_lo, v6, v8, vcc_lo
	s_wait_alu 0xf1ff
	v_subrev_co_ci_u32_e64 v10, s2, 0, v10, s2
	s_delay_alu instid0(VALU_DEP_3) | instskip(NEXT) | instid1(VALU_DEP_3)
	v_cmp_le_u32_e32 vcc_lo, s18, v13
	v_cmp_eq_u32_e64 s2, s19, v8
	s_wait_alu 0xfffd
	v_cndmask_b32_e64 v13, 0, -1, vcc_lo
	v_cmp_le_u32_e32 vcc_lo, s19, v10
	s_wait_alu 0xfffd
	v_cndmask_b32_e64 v14, 0, -1, vcc_lo
	v_cmp_le_u32_e32 vcc_lo, s18, v7
	;; [unrolled: 3-line block ×3, first 2 shown]
	s_wait_alu 0xfffd
	v_cndmask_b32_e64 v15, 0, -1, vcc_lo
	v_cmp_eq_u32_e32 vcc_lo, s19, v10
	s_wait_alu 0xf1ff
	s_delay_alu instid0(VALU_DEP_2)
	v_cndmask_b32_e64 v7, v15, v7, s2
	s_wait_alu 0xfffd
	v_cndmask_b32_e32 v10, v14, v13, vcc_lo
	v_add_co_u32 v13, vcc_lo, v4, 1
	s_wait_alu 0xfffd
	v_add_co_ci_u32_e32 v14, vcc_lo, 0, v9, vcc_lo
	s_delay_alu instid0(VALU_DEP_3) | instskip(SKIP_2) | instid1(VALU_DEP_3)
	v_cmp_ne_u32_e32 vcc_lo, 0, v10
	s_wait_alu 0xfffd
	v_cndmask_b32_e32 v10, v13, v11, vcc_lo
	v_cndmask_b32_e32 v8, v14, v12, vcc_lo
	v_cmp_ne_u32_e32 vcc_lo, 0, v7
	s_wait_alu 0xfffd
	s_delay_alu instid0(VALU_DEP_2)
	v_dual_cndmask_b32 v7, v4, v10 :: v_dual_cndmask_b32 v8, v9, v8
.LBB0_4:                                ;   in Loop: Header=BB0_2 Depth=1
	s_wait_alu 0xfffe
	s_and_not1_saveexec_b32 s2, s20
	s_cbranch_execz .LBB0_6
; %bb.5:                                ;   in Loop: Header=BB0_2 Depth=1
	v_cvt_f32_u32_e32 v4, s18
	s_sub_co_i32 s20, 0, s18
	s_delay_alu instid0(VALU_DEP_1) | instskip(NEXT) | instid1(TRANS32_DEP_1)
	v_rcp_iflag_f32_e32 v4, v4
	v_mul_f32_e32 v4, 0x4f7ffffe, v4
	s_delay_alu instid0(VALU_DEP_1) | instskip(SKIP_1) | instid1(VALU_DEP_1)
	v_cvt_u32_f32_e32 v4, v4
	s_wait_alu 0xfffe
	v_mul_lo_u32 v7, s20, v4
	s_delay_alu instid0(VALU_DEP_1) | instskip(NEXT) | instid1(VALU_DEP_1)
	v_mul_hi_u32 v7, v4, v7
	v_add_nc_u32_e32 v4, v4, v7
	s_delay_alu instid0(VALU_DEP_1) | instskip(NEXT) | instid1(VALU_DEP_1)
	v_mul_hi_u32 v4, v5, v4
	v_mul_lo_u32 v7, v4, s18
	v_add_nc_u32_e32 v8, 1, v4
	s_delay_alu instid0(VALU_DEP_2) | instskip(NEXT) | instid1(VALU_DEP_1)
	v_sub_nc_u32_e32 v7, v5, v7
	v_subrev_nc_u32_e32 v9, s18, v7
	v_cmp_le_u32_e32 vcc_lo, s18, v7
	s_wait_alu 0xfffd
	s_delay_alu instid0(VALU_DEP_2) | instskip(NEXT) | instid1(VALU_DEP_1)
	v_dual_cndmask_b32 v7, v7, v9 :: v_dual_cndmask_b32 v4, v4, v8
	v_cmp_le_u32_e32 vcc_lo, s18, v7
	s_delay_alu instid0(VALU_DEP_2) | instskip(SKIP_1) | instid1(VALU_DEP_1)
	v_add_nc_u32_e32 v8, 1, v4
	s_wait_alu 0xfffd
	v_dual_cndmask_b32 v7, v4, v8 :: v_dual_mov_b32 v8, v3
.LBB0_6:                                ;   in Loop: Header=BB0_2 Depth=1
	s_wait_alu 0xfffe
	s_or_b32 exec_lo, exec_lo, s2
	s_load_b64 s[20:21], s[12:13], 0x0
	s_delay_alu instid0(VALU_DEP_1)
	v_mul_lo_u32 v4, v8, s18
	v_mul_lo_u32 v11, v7, s19
	v_mad_co_u64_u32 v[9:10], null, v7, s18, 0
	s_add_nc_u64 s[14:15], s[14:15], 1
	s_add_nc_u64 s[12:13], s[12:13], 8
	s_wait_alu 0xfffe
	v_cmp_ge_u64_e64 s2, s[14:15], s[6:7]
	s_add_nc_u64 s[16:17], s[16:17], 8
	s_delay_alu instid0(VALU_DEP_2) | instskip(NEXT) | instid1(VALU_DEP_3)
	v_add3_u32 v4, v10, v11, v4
	v_sub_co_u32 v5, vcc_lo, v5, v9
	s_wait_alu 0xfffd
	s_delay_alu instid0(VALU_DEP_2) | instskip(SKIP_3) | instid1(VALU_DEP_2)
	v_sub_co_ci_u32_e32 v4, vcc_lo, v6, v4, vcc_lo
	s_and_b32 vcc_lo, exec_lo, s2
	s_wait_kmcnt 0x0
	v_mul_lo_u32 v6, s21, v5
	v_mul_lo_u32 v4, s20, v4
	v_mad_co_u64_u32 v[1:2], null, s20, v5, v[1:2]
	s_delay_alu instid0(VALU_DEP_1)
	v_add3_u32 v2, v6, v2, v4
	s_wait_alu 0xfffe
	s_cbranch_vccnz .LBB0_9
; %bb.7:                                ;   in Loop: Header=BB0_2 Depth=1
	v_dual_mov_b32 v5, v7 :: v_dual_mov_b32 v6, v8
	s_branch .LBB0_2
.LBB0_8:
	v_dual_mov_b32 v8, v6 :: v_dual_mov_b32 v7, v5
.LBB0_9:
	s_lshl_b64 s[2:3], s[6:7], 3
	v_mul_hi_u32 v3, 0x253c826, v0
	s_wait_alu 0xfffe
	s_add_nc_u64 s[2:3], s[10:11], s[2:3]
	s_load_b64 s[2:3], s[2:3], 0x0
	s_load_b64 s[0:1], s[0:1], 0x20
	s_delay_alu instid0(VALU_DEP_1) | instskip(NEXT) | instid1(VALU_DEP_1)
	v_mul_u32_u24_e32 v3, 0x6e, v3
	v_sub_nc_u32_e32 v0, v0, v3
	s_wait_kmcnt 0x0
	v_mul_lo_u32 v4, s2, v8
	v_mul_lo_u32 v5, s3, v7
	v_mad_co_u64_u32 v[1:2], null, s2, v7, v[1:2]
	v_cmp_gt_u64_e32 vcc_lo, s[0:1], v[7:8]
	v_cmp_le_u64_e64 s0, s[0:1], v[7:8]
	s_delay_alu instid0(VALU_DEP_3) | instskip(SKIP_1) | instid1(VALU_DEP_3)
	v_add3_u32 v2, v5, v2, v4
	v_add_nc_u32_e32 v4, 0x6e, v0
	s_and_saveexec_b32 s1, s0
	s_wait_alu 0xfffe
	s_xor_b32 s0, exec_lo, s1
; %bb.10:
	v_add_nc_u32_e32 v4, 0x6e, v0
; %bb.11:
	s_wait_alu 0xfffe
	s_or_saveexec_b32 s1, s0
	v_lshlrev_b64_e32 v[2:3], 2, v[1:2]
	v_lshl_add_u32 v27, v0, 2, 0
	s_wait_alu 0xfffe
	s_xor_b32 exec_lo, exec_lo, s1
	s_cbranch_execz .LBB0_13
; %bb.12:
	s_delay_alu instid0(VALU_DEP_1) | instskip(SKIP_3) | instid1(VALU_DEP_4)
	v_dual_mov_b32 v1, 0 :: v_dual_add_nc_u32 v20, 0x600, v27
	v_add_nc_u32_e32 v21, 0xa00, v27
	v_add_nc_u32_e32 v22, 0xc00, v27
	;; [unrolled: 1-line block ×3, first 2 shown]
	v_lshlrev_b64_e32 v[5:6], 2, v[0:1]
	v_add_co_u32 v1, s0, s8, v2
	s_wait_alu 0xf1ff
	v_add_co_ci_u32_e64 v7, s0, s9, v3, s0
	v_add_nc_u32_e32 v24, 0x1400, v27
	s_delay_alu instid0(VALU_DEP_3) | instskip(SKIP_1) | instid1(VALU_DEP_3)
	v_add_co_u32 v5, s0, v1, v5
	s_wait_alu 0xf1ff
	v_add_co_ci_u32_e64 v6, s0, v7, v6, s0
	s_clause 0xe
	global_load_b32 v1, v[5:6], off
	global_load_b32 v7, v[5:6], off offset:440
	global_load_b32 v8, v[5:6], off offset:880
	;; [unrolled: 1-line block ×14, first 2 shown]
	v_add_nc_u32_e32 v6, 0x200, v27
	s_wait_loadcnt 0xd
	ds_store_2addr_b32 v27, v1, v7 offset1:110
	s_wait_loadcnt 0xb
	ds_store_2addr_b32 v6, v8, v9 offset0:92 offset1:202
	s_wait_loadcnt 0x9
	ds_store_2addr_b32 v20, v10, v11 offset0:56 offset1:166
	;; [unrolled: 2-line block ×6, first 2 shown]
	s_wait_loadcnt 0x0
	ds_store_b32 v27, v5 offset:6160
.LBB0_13:
	s_or_b32 exec_lo, exec_lo, s1
	v_add_nc_u32_e32 v7, 0x400, v27
	v_add_nc_u32_e32 v1, 0x200, v27
	;; [unrolled: 1-line block ×3, first 2 shown]
	global_wb scope:SCOPE_SE
	s_wait_dscnt 0x0
	s_barrier_signal -1
	s_barrier_wait -1
	global_inv scope:SCOPE_SE
	ds_load_2addr_b32 v[5:6], v27 offset1:110
	ds_load_2addr_b32 v[25:26], v1 offset0:22 offset1:132
	ds_load_2addr_b32 v[19:20], v7 offset0:44 offset1:154
	ds_load_2addr_b32 v[7:8], v8 offset0:92 offset1:202
	v_add_nc_u32_e32 v1, 0x1400, v27
	v_add_nc_u32_e32 v11, 0x600, v27
	;; [unrolled: 1-line block ×3, first 2 shown]
	ds_load_2addr_b32 v[9:10], v1 offset0:70 offset1:180
	ds_load_2addr_b32 v[21:22], v11 offset0:66 offset1:176
	;; [unrolled: 1-line block ×3, first 2 shown]
	v_add_nc_u32_e32 v1, 0x800, v27
	v_add_nc_u32_e32 v13, 0xa00, v27
	v_add_nc_u32_e32 v33, 0xc00, v27
	v_add_nc_u32_e32 v32, 0x1000, v27
	ds_load_2addr_b32 v[23:24], v1 offset0:88 offset1:198
	ds_load_2addr_b32 v[17:18], v13 offset0:110 offset1:220
	;; [unrolled: 1-line block ×4, first 2 shown]
	global_wb scope:SCOPE_SE
	s_wait_dscnt 0x0
	s_barrier_signal -1
	s_barrier_wait -1
	global_inv scope:SCOPE_SE
	s_mov_b32 s1, exec_lo
	v_lshrrev_b32_e32 v45, 16, v6
	v_lshrrev_b32_e32 v76, 16, v5
	v_pk_add_f16 v34, v26, v8 neg_lo:[0,1] neg_hi:[0,1]
	v_pk_add_f16 v37, v8, v26
	v_pk_add_f16 v35, v20, v10 neg_lo:[0,1] neg_hi:[0,1]
	s_delay_alu instid0(VALU_DEP_3) | instskip(NEXT) | instid1(VALU_DEP_3)
	v_lshrrev_b32_e32 v1, 16, v34
	v_lshrrev_b32_e32 v28, 16, v37
	v_pk_add_f16 v38, v10, v20
	v_pk_add_f16 v36, v22, v12 neg_lo:[0,1] neg_hi:[0,1]
	v_lshrrev_b32_e32 v29, 16, v35
	v_mul_f16_e32 v50, 0xbbeb, v1
	v_mul_f16_e32 v57, 0xb93d, v28
	;; [unrolled: 1-line block ×3, first 2 shown]
	v_lshrrev_b32_e32 v30, 16, v38
	v_mul_f16_e32 v49, 0x3482, v29
	v_fma_f16 v1, v37, 0xb08e, -v50
	v_fmamk_f16 v40, v34, 0xba0c, v57
	v_mul_f16_e32 v46, 0xb08e, v28
	v_fma_f16 v39, v37, 0xb93d, -v52
	v_fma_f16 v41, v38, 0xbbad, -v49
	v_add_f16_e32 v1, v6, v1
	v_add_f16_e32 v42, v45, v40
	v_pk_add_f16 v40, v12, v22
	v_fmamk_f16 v28, v34, 0xbbeb, v46
	v_mul_f16_e32 v48, 0xbbad, v30
	v_add_f16_e32 v1, v41, v1
	v_lshrrev_b32_e32 v41, 16, v36
	v_mul_f16_e32 v54, 0x3beb, v29
	v_mul_f16_e32 v58, 0xb08e, v30
	v_lshrrev_b32_e32 v30, 16, v40
	v_add_f16_e32 v28, v45, v28
	v_add_f16_e32 v39, v6, v39
	v_fmamk_f16 v29, v35, 0x3482, v48
	v_mul_f16_e32 v51, 0x3b47, v41
	v_fma_f16 v43, v38, 0xb08e, -v54
	v_fmamk_f16 v44, v35, 0x3beb, v58
	v_mul_f16_e32 v47, 0x36a6, v30
	v_add_f16_e32 v28, v29, v28
	v_fma_f16 v29, v40, 0x36a6, -v51
	v_add_f16_e32 v43, v43, v39
	v_add_f16_e32 v44, v44, v42
	v_pk_add_f16 v39, v24, v14 neg_lo:[0,1] neg_hi:[0,1]
	v_fmamk_f16 v42, v36, 0x3b47, v47
	v_add_f16_e32 v1, v29, v1
	v_mul_f16_e32 v59, 0xb853, v41
	v_mul_f16_e32 v60, 0x3abb, v30
	v_lshrrev_b32_e32 v29, 16, v39
	v_add_f16_e32 v28, v42, v28
	v_pk_add_f16 v42, v14, v24
	v_fma_f16 v30, v40, 0x3abb, -v59
	v_fmamk_f16 v53, v36, 0xb853, v60
	v_mul_f16_e32 v56, 0xb853, v29
	v_pk_add_f16 v41, v18, v16 neg_lo:[0,1] neg_hi:[0,1]
	v_lshrrev_b32_e32 v55, 16, v42
	v_add_f16_e32 v30, v30, v43
	v_add_f16_e32 v44, v53, v44
	v_fma_f16 v63, v42, 0x3abb, -v56
	v_lshrrev_b32_e32 v64, 16, v41
	v_mul_f16_e32 v53, 0x3abb, v55
	v_mul_f16_e32 v61, 0xb482, v29
	;; [unrolled: 1-line block ×3, first 2 shown]
	v_pk_add_f16 v43, v16, v18
	v_mul_f16_e32 v55, 0xba0c, v64
	v_add_f16_e32 v1, v63, v1
	v_fmamk_f16 v29, v39, 0xb853, v53
	v_fma_f16 v63, v42, 0xbbad, -v61
	v_fmamk_f16 v65, v39, 0xb482, v62
	v_lshrrev_b32_e32 v67, 16, v43
	v_fma_f16 v66, v43, 0xb93d, -v55
	v_add_f16_e32 v28, v29, v28
	v_add_f16_e32 v29, v63, v30
	;; [unrolled: 1-line block ×3, first 2 shown]
	v_mul_f16_e32 v44, 0xb93d, v67
	v_pk_add_f16 v65, v25, v7 neg_lo:[0,1] neg_hi:[0,1]
	v_add_f16_e32 v1, v66, v1
	v_mul_f16_e32 v63, 0x3b47, v64
	v_mul_f16_e32 v64, 0x36a6, v67
	v_pk_add_f16 v66, v7, v25
	v_fmamk_f16 v67, v41, 0xba0c, v44
	v_lshrrev_b32_e32 v68, 16, v65
	v_fma_f16 v69, v43, 0x36a6, -v63
	v_fmamk_f16 v70, v41, 0x3b47, v64
	v_pk_mul_f16 v71, 0x3abb36a6, v66
	v_add_f16_e32 v28, v67, v28
	v_mul_f16_e32 v67, 0xb853, v68
	v_add_f16_e32 v29, v69, v29
	v_add_f16_e32 v30, v70, v30
	v_pk_fma_f16 v69, 0xbb47b853, v65, v71 op_sel:[0,0,1] op_sel_hi:[1,1,0] neg_lo:[0,1,0] neg_hi:[0,1,0]
	v_pk_fma_f16 v70, 0xbb47b853, v65, v71 op_sel:[0,0,1] op_sel_hi:[1,1,0]
	v_fma_f16 v71, v66, 0x3abb, -v67
	v_fmac_f16_e32 v67, 0x3abb, v66
	v_lshrrev_b32_e32 v72, 16, v66
	v_mul_f16_e32 v73, 0xbb47, v65
	v_pk_add_f16 v83, v9, v19
	v_mul_f16_e32 v77, 0xbbeb, v68
	v_add_f16_e32 v75, v5, v67
	v_mul_f16_e32 v78, 0xbbeb, v65
	v_fmamk_f16 v67, v72, 0x36a6, v73
	v_mul_f16_e32 v82, 0xba0c, v65
	v_pk_mul_f16 v87, 0x36a6b93d, v83
	v_lshrrev_b32_e32 v91, 16, v83
	v_bfi_b32 v74, 0xffff, v70, v69
	v_add_f16_e32 v79, v76, v67
	v_fma_f16 v67, v72, 0x36a6, -v73
	v_add_f16_e32 v71, v5, v71
	v_alignbit_b32 v70, s0, v70, 16
	v_fma_f16 v73, v66, 0xb08e, -v77
	v_fmamk_f16 v80, v72, 0xb08e, v78
	v_add_f16_e32 v81, v76, v67
	v_pk_add_f16 v67, v19, v9 neg_lo:[0,1] neg_hi:[0,1]
	v_fmac_f16_e32 v77, 0xb08e, v66
	v_fma_f16 v78, v72, 0xb08e, -v78
	v_fmamk_f16 v86, v72, 0xb93d, v82
	v_fma_f16 v72, v72, 0xb93d, -v82
	v_lshrrev_b32_e32 v85, 16, v67
	v_mul_f16_e32 v92, 0xba0c, v67
	v_pk_fma_f16 v89, 0xba0cbb47, v67, v87 op_sel:[0,0,1] op_sel_hi:[1,1,0] neg_lo:[0,1,0] neg_hi:[0,1,0]
	v_pk_fma_f16 v87, 0xba0cbb47, v67, v87 op_sel:[0,0,1] op_sel_hi:[1,1,0]
	v_pk_add_f16 v74, v5, v74 op_sel:[1,0] op_sel_hi:[0,1]
	v_mul_f16_e32 v88, 0xbb47, v85
	v_fmamk_f16 v82, v91, 0xb93d, v92
	v_pk_add_f16 v70, v5, v70
	v_add_f16_e32 v77, v5, v77
	v_mul_f16_e32 v68, 0xba0c, v68
	v_fma_f16 v90, v83, 0x36a6, -v88
	v_fmac_f16_e32 v88, 0x36a6, v83
	v_bfi_b32 v93, 0xffff, v87, v89
	v_add_f16_e32 v79, v82, v79
	v_alignbit_b32 v82, s0, v87, 16
	v_add_f16_e32 v71, v90, v71
	v_add_f16_e32 v75, v88, v75
	v_mul_f16_e32 v88, 0x3482, v85
	v_mul_f16_e32 v90, 0x3482, v67
	v_fma_f16 v87, v91, 0xb93d, -v92
	v_add_f16_e32 v73, v5, v73
	v_add_f16_e32 v80, v76, v80
	v_fma_f16 v92, v83, 0xbbad, -v88
	v_fmac_f16_e32 v88, 0xbbad, v83
	v_add_f16_e32 v78, v76, v78
	v_fma_f16 v84, v66, 0xb93d, -v68
	v_pk_add_f16 v74, v93, v74
	v_fmamk_f16 v93, v91, 0xbbad, v90
	v_pk_add_f16 v70, v82, v70
	v_add_f16_e32 v81, v87, v81
	v_fma_f16 v82, v91, 0xbbad, -v90
	v_mul_f16_e32 v85, 0x3beb, v85
	v_pk_add_f16 v87, v21, v11 neg_lo:[0,1] neg_hi:[0,1]
	v_mul_f16_e32 v90, 0x3beb, v67
	v_add_f16_e32 v77, v88, v77
	v_pk_add_f16 v88, v11, v21
	v_fmac_f16_e32 v68, 0xb93d, v66
	v_add_f16_e32 v84, v5, v84
	v_add_f16_e32 v86, v76, v86
	;; [unrolled: 1-line block ×5, first 2 shown]
	v_fma_f16 v82, v83, 0xb08e, -v85
	v_lshrrev_b32_e32 v92, 16, v87
	v_fmamk_f16 v93, v91, 0xb08e, v90
	v_pk_mul_f16 v94, 0xb08ebbad, v88
	v_add_f16_e32 v68, v5, v68
	v_fmac_f16_e32 v85, 0xb08e, v83
	v_add_f16_e32 v82, v82, v84
	v_mul_f16_e32 v84, 0xbbeb, v92
	v_add_f16_e32 v86, v93, v86
	v_pk_fma_f16 v93, 0x3482bbeb, v87, v94 op_sel:[0,0,1] op_sel_hi:[1,1,0] neg_lo:[0,1,0] neg_hi:[0,1,0]
	v_pk_fma_f16 v94, 0x3482bbeb, v87, v94 op_sel:[0,0,1] op_sel_hi:[1,1,0]
	v_add_f16_e32 v68, v85, v68
	v_fma_f16 v85, v91, 0xb08e, -v90
	v_fma_f16 v90, v88, 0xb08e, -v84
	v_add_f16_e32 v72, v76, v72
	v_bfi_b32 v91, 0xffff, v94, v93
	v_fmac_f16_e32 v84, 0xb08e, v88
	v_lshrrev_b32_e32 v95, 16, v88
	v_mul_f16_e32 v96, 0x3482, v87
	v_add_f16_e32 v71, v90, v71
	v_pk_add_f16 v74, v91, v74
	v_alignbit_b32 v90, s0, v94, 16
	v_mul_f16_e32 v91, 0x3b47, v87
	v_add_f16_e32 v72, v85, v72
	v_add_f16_e32 v75, v84, v75
	v_fmamk_f16 v84, v95, 0xbbad, v96
	v_mul_f16_e32 v85, 0x3b47, v92
	v_fma_f16 v94, v95, 0xbbad, -v96
	v_pk_add_f16 v70, v90, v70
	v_fmamk_f16 v90, v95, 0x36a6, v91
	v_mul_f16_e32 v92, 0xb853, v92
	v_add_f16_e32 v79, v84, v79
	v_fma_f16 v84, v88, 0x36a6, -v85
	v_add_f16_e32 v81, v94, v81
	v_fmac_f16_e32 v85, 0x36a6, v88
	v_add_f16_e32 v80, v90, v80
	v_fma_f16 v90, v88, 0x3abb, -v92
	v_mul_f16_e32 v94, 0xb853, v87
	v_add_f16_e32 v73, v84, v73
	v_fma_f16 v84, v95, 0x36a6, -v91
	v_pk_add_f16 v91, v23, v13 neg_lo:[0,1] neg_hi:[0,1]
	v_add_f16_e32 v77, v85, v77
	v_add_f16_e32 v82, v90, v82
	v_fmamk_f16 v85, v95, 0x3abb, v94
	v_pk_add_f16 v90, v13, v23
	v_add_f16_e32 v78, v84, v78
	v_lshrrev_b32_e32 v84, 16, v91
	v_fma_f16 v94, v95, 0x3abb, -v94
	v_add_f16_e32 v85, v85, v86
	v_pk_mul_f16 v86, 0xb93db08e, v90
	v_fmac_f16_e32 v92, 0x3abb, v88
	v_mul_f16_e32 v95, 0xba0c, v84
	v_add_f16_e32 v72, v94, v72
	v_lshrrev_b32_e32 v96, 16, v90
	v_pk_fma_f16 v94, 0x3bebba0c, v91, v86 op_sel:[0,0,1] op_sel_hi:[1,1,0] neg_lo:[0,1,0] neg_hi:[0,1,0]
	v_pk_fma_f16 v86, 0x3bebba0c, v91, v86 op_sel:[0,0,1] op_sel_hi:[1,1,0]
	v_add_f16_e32 v68, v92, v68
	v_fma_f16 v92, v90, 0xb93d, -v95
	v_fmac_f16_e32 v95, 0xb93d, v90
	v_mul_f16_e32 v97, 0x3beb, v91
	v_bfi_b32 v98, 0xffff, v86, v94
	v_add_f16_e32 v69, v76, v69
	v_add_f16_e32 v71, v92, v71
	v_mul_f16_e32 v92, 0xb853, v84
	v_add_f16_e32 v75, v95, v75
	v_fmamk_f16 v95, v96, 0xb08e, v97
	v_fma_f16 v97, v96, 0xb08e, -v97
	v_pk_add_f16 v74, v98, v74
	v_mul_f16_e32 v98, 0xb853, v91
	v_fma_f16 v99, v90, 0x3abb, -v92
	v_add_f16_e32 v79, v95, v79
	v_add_f16_e32 v81, v97, v81
	v_mul_f16_e32 v97, 0xb482, v91
	v_fmamk_f16 v95, v96, 0x3abb, v98
	v_add_f16_e32 v73, v99, v73
	v_mul_f16_e32 v84, 0xb482, v84
	v_fmac_f16_e32 v92, 0x3abb, v90
	v_pk_add_f16 v99, v17, v15 neg_lo:[0,1] neg_hi:[0,1]
	v_add_f16_e32 v80, v95, v80
	v_fmamk_f16 v95, v96, 0xbbad, v97
	v_fma_f16 v100, v90, 0xbbad, -v84
	v_add_f16_e32 v77, v92, v77
	v_lshrrev_b32_e32 v92, 16, v99
	v_fmac_f16_e32 v84, 0xbbad, v90
	v_add_f16_e32 v76, v95, v85
	v_pk_add_f16 v85, v15, v17
	v_add_f16_e32 v69, v89, v69
	v_pk_add_f16 v25, v5, v25
	v_mul_f16_e32 v95, 0xb482, v92
	v_add_f16_e32 v68, v84, v68
	v_pk_mul_f16 v84, 0xbbad3abb, v85
	v_add_f16_e32 v69, v93, v69
	v_pk_add_f16 v19, v25, v19
	v_fma_f16 v89, v96, 0x3abb, -v98
	v_fma_f16 v96, v96, 0xbbad, -v97
	;; [unrolled: 1-line block ×3, first 2 shown]
	v_add_f16_e32 v69, v94, v69
	v_pk_fma_f16 v93, 0x3853b482, v99, v84 op_sel:[0,0,1] op_sel_hi:[1,1,0] neg_lo:[0,1,0] neg_hi:[0,1,0]
	v_pk_fma_f16 v94, 0x3853b482, v99, v84 op_sel:[0,0,1] op_sel_hi:[1,1,0]
	v_pk_add_f16 v19, v19, v21
	v_add_f16_e32 v72, v96, v72
	v_add_f16_e32 v71, v97, v71
	v_fmac_f16_e32 v95, 0xbbad, v85
	v_lshrrev_b32_e32 v96, 16, v85
	v_mul_f16_e32 v97, 0x3853, v99
	v_bfi_b32 v94, 0xffff, v94, v93
	v_pk_add_f16 v19, v19, v23
	v_add_f16_e32 v75, v95, v75
	v_mul_f16_e32 v95, 0xba0c, v92
	v_add_f16_e32 v69, v93, v69
	v_fmamk_f16 v93, v96, 0x3abb, v97
	v_pk_add_f16 v74, v94, v74
	v_mul_f16_e32 v94, 0x3b47, v99
	v_pk_add_f16 v17, v19, v17
	v_fma_f16 v98, v85, 0xb93d, -v95
	v_add_f16_e32 v79, v93, v79
	v_fmac_f16_e32 v95, 0xb93d, v85
	v_fma_f16 v21, v96, 0x36a6, -v94
	v_pk_mul_f16 v66, 0xbbad, v66 op_sel_hi:[0,1]
	v_pk_add_f16 v15, v17, v15
	v_alignbit_b32 v23, v79, v74, 16
	v_add_f16_e32 v25, v95, v77
	v_fmamk_f16 v77, v96, 0x36a6, v94
	v_add_f16_e32 v21, v21, v72
	v_pack_b32_f16 v71, v71, v74
	v_pk_fma_f16 v72, 0xb482, v65, v66 op_sel:[0,0,1] op_sel_hi:[0,1,0] neg_lo:[0,1,0] neg_hi:[0,1,0]
	v_pk_mul_f16 v19, 0x3abb, v83 op_sel_hi:[0,1]
	v_alignbit_b32 v74, s0, v5, 16
	v_pk_add_f16 v13, v15, v13
	v_add_f16_e32 v76, v77, v76
	v_pk_fma_f16 v65, 0xb482, v65, v66 op_sel:[0,0,1] op_sel_hi:[0,1,0]
	v_alignbit_b32 v66, s0, v72, 16
	v_pk_fma_f16 v17, 0x3853, v67, v19 op_sel:[0,0,1] op_sel_hi:[0,1,0] neg_lo:[0,1,0] neg_hi:[0,1,0]
	v_pk_mul_f16 v77, 0xb93d, v88 op_sel_hi:[0,1]
	v_pk_add_f16 v72, v74, v72
	v_pk_add_f16 v11, v13, v11
	;; [unrolled: 1-line block ×3, first 2 shown]
	v_alignbit_b32 v15, s0, v17, 16
	v_pk_fma_f16 v74, 0xba0c, v87, v77 op_sel:[0,0,1] op_sel_hi:[0,1,0] neg_lo:[0,1,0] neg_hi:[0,1,0]
	v_pk_fma_f16 v19, 0x3853, v67, v19 op_sel:[0,0,1] op_sel_hi:[0,1,0]
	v_pk_add_f16 v5, v5, v65 op_sel:[1,0] op_sel_hi:[0,1]
	v_pk_add_f16 v9, v11, v9
	v_pk_add_f16 v11, v17, v72
	v_pk_mul_f16 v17, 0x36a6, v90 op_sel_hi:[0,1]
	v_pk_add_f16 v13, v15, v66
	v_alignbit_b32 v15, s0, v74, 16
	v_pk_add_f16 v5, v19, v5
	v_pk_add_f16 v7, v9, v7
	v_pk_fma_f16 v9, 0xba0c, v87, v77 op_sel:[0,0,1] op_sel_hi:[0,1,0]
	v_pk_fma_f16 v19, 0x3b47, v91, v17 op_sel:[0,0,1] op_sel_hi:[0,1,0] neg_lo:[0,1,0] neg_hi:[0,1,0]
	v_add_f16_e32 v82, v100, v82
	v_mul_f16_e32 v100, 0xb93d, v96
	v_pk_add_f16 v13, v15, v13
	v_pk_add_f16 v5, v9, v5
	v_alignbit_b32 v9, s0, v19, 16
	v_pk_fma_f16 v17, 0x3b47, v91, v17 op_sel:[0,0,1] op_sel_hi:[0,1,0]
	v_pk_mul_f16 v67, 0xb08e, v85 op_sel_hi:[0,1]
	v_fmamk_f16 v93, v99, 0xba0c, v100
	v_mul_f16_e32 v92, 0x3b47, v92
	v_pk_mul_f16 v66, 0x3853b482, v99
	v_mul_f16_e32 v72, 0xba0c, v99
	v_pk_add_f16 v9, v9, v13
	v_lshlrev_b32_e32 v13, 16, v70
	v_pk_add_f16 v11, v74, v11
	v_pk_add_f16 v5, v17, v5
	v_pk_fma_f16 v17, 0xbbeb, v99, v67 op_sel:[0,0,1] op_sel_hi:[0,1,0] neg_lo:[0,1,0] neg_hi:[0,1,0]
	v_add_f16_e32 v80, v93, v80
	v_fma_f16 v93, v85, 0x36a6, -v92
	v_fmac_f16_e32 v92, 0x36a6, v85
	v_pack_b32_f16 v70, v89, v84
	v_bfi_b32 v66, 0xffff, v78, v66
	v_pk_add_f16 v72, v100, v72 neg_lo:[0,1] neg_hi:[0,1]
	v_pk_add_f16 v13, v86, v13
	v_pk_fma_f16 v67, 0xbbeb, v99, v67 op_sel:[0,0,1] op_sel_hi:[0,1,0]
	v_pk_add_f16 v11, v19, v11
	v_alignbit_b32 v19, s0, v17, 16
	v_fma_f16 v97, v96, 0x3abb, -v97
	v_add_f16_e32 v68, v92, v68
	v_pk_add_f16 v66, v70, v66
	v_bfi_b32 v13, 0xffff, v72, v13
	v_add_f16_e32 v73, v98, v73
	v_add_f16_e32 v82, v93, v82
	v_pk_add_f16 v5, v67, v5
	v_pk_add_f16 v11, v17, v11
	;; [unrolled: 1-line block ×3, first 2 shown]
	v_add_f16_e32 v81, v97, v81
	v_mad_u32_u24 v15, v0, 40, v27
	v_pack_b32_f16 v17, v68, v21
	v_pk_add_f16 v13, v13, v66
	v_pack_b32_f16 v65, v82, v76
	v_pack_b32_f16 v19, v73, v80
	v_alignbit_b32 v11, v11, v5, 16
	v_pack_b32_f16 v5, v9, v5
	ds_store_2addr_b32 v15, v7, v17 offset1:7
	v_alignbit_b32 v7, v81, v13, 16
	v_pack_b32_f16 v9, v25, v13
	v_pack_b32_f16 v13, v75, v69
	ds_store_2addr_b32 v15, v71, v23 offset0:1 offset1:2
	ds_store_2addr_b32 v15, v19, v65 offset0:3 offset1:4
	;; [unrolled: 1-line block ×4, first 2 shown]
	ds_store_b32 v15, v13 offset:40
	v_cmpx_gt_u32_e32 40, v0
	s_cbranch_execz .LBB0_15
; %bb.14:
	v_mul_f16_e32 v9, 0xb93d, v37
	v_mul_f16_e32 v19, 0xb08e, v38
	;; [unrolled: 1-line block ×5, first 2 shown]
	v_add_f16_e32 v9, v9, v52
	v_add_f16_e32 v19, v19, v54
	v_mul_f16_e32 v13, 0xbbad, v38
	v_mul_f16_e32 v69, 0xbbad, v42
	v_add_f16_e32 v5, v5, v50
	v_add_f16_e32 v9, v6, v9
	v_mul_f16_e32 v21, 0x3beb, v35
	v_mul_f16_e32 v23, 0x36a6, v40
	;; [unrolled: 1-line block ×3, first 2 shown]
	v_sub_f16_e32 v11, v57, v11
	v_add_f16_e32 v9, v19, v9
	v_add_f16_e32 v19, v65, v59
	;; [unrolled: 1-line block ×4, first 2 shown]
	v_mul_f16_e32 v66, 0xb853, v36
	v_add_f16_e32 v11, v45, v11
	v_add_f16_e32 v9, v19, v9
	;; [unrolled: 1-line block ×3, first 2 shown]
	v_sub_f16_e32 v21, v58, v21
	v_add_f16_e32 v5, v13, v5
	v_add_f16_e32 v13, v23, v51
	v_pk_add_f16 v23, v6, v26
	v_add_f16_e32 v9, v19, v9
	v_add_f16_e32 v19, v73, v63
	v_mul_f16_e32 v70, 0xb482, v39
	v_add_f16_e32 v11, v21, v11
	v_sub_f16_e32 v21, v60, v66
	v_mul_f16_e32 v67, 0x3abb, v42
	v_add_f16_e32 v9, v19, v9
	v_pk_add_f16 v19, v23, v20
	v_mul_f16_e32 v74, 0x3b47, v41
	v_add_f16_e32 v11, v21, v11
	v_sub_f16_e32 v21, v62, v70
	v_mul_f16_e32 v71, 0xb93d, v43
	v_pk_add_f16 v19, v19, v22
	v_pk_mul_f16 v57, 0x3abb36a6, v37
	v_add_f16_e32 v5, v13, v5
	v_add_f16_e32 v11, v21, v11
	v_sub_f16_e32 v21, v64, v74
	v_add_f16_e32 v13, v67, v56
	v_pk_add_f16 v19, v19, v24
	v_mul_f16_e32 v25, 0x3b47, v36
	v_pk_mul_f16 v75, 0x36a6b93d, v38
	v_add_f16_e32 v11, v21, v11
	v_add_f16_e32 v5, v13, v5
	;; [unrolled: 1-line block ×3, first 2 shown]
	v_pk_fma_f16 v21, 0xbb47b853, v34, v57 op_sel:[0,0,1] op_sel_hi:[1,1,0] neg_lo:[0,1,0] neg_hi:[0,1,0]
	v_pk_fma_f16 v24, 0xbb47b853, v34, v57 op_sel:[0,0,1] op_sel_hi:[1,1,0]
	v_pk_add_f16 v18, v19, v18
	v_pk_mul_f16 v76, 0xb08ebbad, v40
	v_sub_f16_e32 v20, v47, v25
	v_add_f16_e32 v13, v13, v5
	v_pk_fma_f16 v5, 0xba0cbb47, v35, v75 op_sel:[0,0,1] op_sel_hi:[1,1,0] neg_lo:[0,1,0] neg_hi:[0,1,0]
	v_add_f16_e32 v23, v45, v21
	v_pk_fma_f16 v25, 0xba0cbb47, v35, v75 op_sel:[0,0,1] op_sel_hi:[1,1,0]
	v_bfi_b32 v19, 0xffff, v24, v21
	v_pk_add_f16 v16, v18, v16
	v_pk_mul_f16 v52, 0xb93db08e, v42
	v_pk_fma_f16 v26, 0x3482bbeb, v36, v76 op_sel:[0,0,1] op_sel_hi:[1,1,0] neg_lo:[0,1,0] neg_hi:[0,1,0]
	v_add_f16_e32 v23, v5, v23
	v_pk_fma_f16 v21, 0x3482bbeb, v36, v76 op_sel:[0,0,1] op_sel_hi:[1,1,0]
	v_pk_add_f16 v18, v6, v19 op_sel:[1,0] op_sel_hi:[0,1]
	v_bfi_b32 v5, 0xffff, v25, v5
	v_pk_add_f16 v14, v16, v14
	v_mul_f16_e32 v7, 0xbbeb, v34
	v_pk_mul_f16 v58, 0xbbad3abb, v43
	v_pk_fma_f16 v45, 0x3bebba0c, v39, v52 op_sel:[0,0,1] op_sel_hi:[1,1,0] neg_lo:[0,1,0] neg_hi:[0,1,0]
	v_add_f16_e32 v23, v26, v23
	v_pk_fma_f16 v19, 0x3bebba0c, v39, v52 op_sel:[0,0,1] op_sel_hi:[1,1,0]
	v_pk_add_f16 v5, v5, v18
	v_bfi_b32 v16, 0xffff, v21, v26
	v_pk_add_f16 v12, v14, v12
	v_pk_mul_f16 v14, 0xbbad, v37 op_sel_hi:[0,1]
	v_mul_f16_e32 v17, 0x3482, v35
	v_sub_f16_e32 v7, v46, v7
	v_pk_fma_f16 v46, 0x3853b482, v41, v58 op_sel:[0,0,1] op_sel_hi:[1,1,0] neg_lo:[0,1,0] neg_hi:[0,1,0]
	v_add_f16_e32 v23, v45, v23
	v_pk_add_f16 v5, v16, v5
	v_bfi_b32 v16, 0xffff, v19, v45
	v_pk_fma_f16 v26, 0x3853b482, v41, v58 op_sel:[0,0,1] op_sel_hi:[1,1,0]
	v_pk_add_f16 v10, v12, v10
	v_pk_fma_f16 v12, 0xb482, v34, v14 op_sel:[0,0,1] op_sel_hi:[0,1,0] neg_lo:[0,1,0] neg_hi:[0,1,0]
	v_pk_mul_f16 v45, 0x3abb, v38 op_sel_hi:[0,1]
	v_sub_f16_e32 v17, v48, v17
	v_pk_add_f16 v5, v16, v5
	v_bfi_b32 v16, 0xffff, v26, v46
	v_alignbit_b32 v47, s0, v12, 16
	v_pk_fma_f16 v48, 0x3853, v35, v45 op_sel:[0,0,1] op_sel_hi:[0,1,0] neg_lo:[0,1,0] neg_hi:[0,1,0]
	v_alignbit_b32 v18, s0, v6, 16
	v_pk_add_f16 v8, v10, v8
	v_pk_add_f16 v10, v16, v5
	v_pk_fma_f16 v5, 0xb482, v34, v14 op_sel:[0,0,1] op_sel_hi:[0,1,0]
	v_pk_add_f16 v14, v6, v47
	v_alignbit_b32 v16, s0, v48, 16
	v_pk_mul_f16 v47, 0xb93d, v40 op_sel_hi:[0,1]
	v_pk_add_f16 v12, v18, v12
	v_pk_add_f16 v5, v6, v5 op_sel:[1,0] op_sel_hi:[0,1]
	v_pk_fma_f16 v45, 0x3853, v35, v45 op_sel:[0,0,1] op_sel_hi:[0,1,0]
	v_pk_add_f16 v14, v16, v14
	v_pk_fma_f16 v16, 0xba0c, v36, v47 op_sel:[0,0,1] op_sel_hi:[0,1,0] neg_lo:[0,1,0] neg_hi:[0,1,0]
	v_pk_mul_f16 v49, 0x36a6, v42 op_sel_hi:[0,1]
	v_pk_add_f16 v12, v48, v12
	v_pk_add_f16 v5, v45, v5
	v_pk_fma_f16 v45, 0xba0c, v36, v47 op_sel:[0,0,1] op_sel_hi:[0,1,0]
	v_alignbit_b32 v47, s0, v16, 16
	v_pk_fma_f16 v48, 0x3b47, v39, v49 op_sel:[0,0,1] op_sel_hi:[0,1,0] neg_lo:[0,1,0] neg_hi:[0,1,0]
	v_pk_mul_f16 v50, 0xb08e, v43 op_sel_hi:[0,1]
	v_pk_add_f16 v12, v16, v12
	v_pk_add_f16 v5, v45, v5
	v_pk_fma_f16 v16, 0x3b47, v39, v49 op_sel:[0,0,1] op_sel_hi:[0,1,0]
	v_pk_add_f16 v14, v47, v14
	v_alignbit_b32 v45, s0, v48, 16
	v_pk_fma_f16 v47, 0xbbeb, v41, v50 op_sel:[0,0,1] op_sel_hi:[0,1,0] neg_lo:[0,1,0] neg_hi:[0,1,0]
	v_pk_add_f16 v12, v48, v12
	v_pk_add_f16 v5, v16, v5
	v_pk_fma_f16 v16, 0xbbeb, v41, v50 op_sel:[0,0,1] op_sel_hi:[0,1,0]
	v_pk_add_f16 v14, v45, v14
	v_alignbit_b32 v45, s0, v47, 16
	v_pk_add_f16 v12, v47, v12
	v_alignbit_b32 v7, v7, v24, 16
	v_pk_add_f16 v5, v16, v5
	v_pk_mul_f16 v24, 0x36a63abb, v37
	v_pk_add_f16 v14, v45, v14
	v_mul_f16_e32 v68, 0xb853, v39
	v_pk_add_f16 v7, v6, v7
	v_alignbit_b32 v12, v12, v5, 16
	v_alignbit_b32 v17, v17, v25, 16
	v_pack_b32_f16 v14, v14, v5
	v_pk_fma_f16 v5, 0xb853bb47, v34, v24 op_sel:[0,0,1] op_sel_hi:[1,1,0]
	v_pk_mul_f16 v25, 0xb93d36a6, v38
	v_pack_b32_f16 v9, v9, v11
	v_alignbit_b32 v11, v20, v21, 16
	v_pk_fma_f16 v21, 0xb853bb47, v34, v24 op_sel:[0,0,1] op_sel_hi:[1,1,0] neg_lo:[0,1,0] neg_hi:[0,1,0]
	v_sub_f16_e32 v22, v53, v68
	v_pk_add_f16 v7, v17, v7
	v_pk_add_f16 v17, v18, v5
	v_pk_fma_f16 v18, 0xbb47ba0c, v35, v25 op_sel:[0,0,1] op_sel_hi:[1,1,0]
	v_pk_mul_f16 v20, 0xbbadb08e, v40
	v_alignbit_b32 v34, s0, v21, 16
	v_pk_fma_f16 v25, 0xbb47ba0c, v35, v25 op_sel:[0,0,1] op_sel_hi:[1,1,0] neg_lo:[0,1,0] neg_hi:[0,1,0]
	v_alignbit_b32 v19, v22, v19, 16
	v_pk_mul_f16 v35, 0xb08eb93d, v42
	v_pk_fma_f16 v24, 0xbbeb3482, v36, v20 op_sel:[0,0,1] op_sel_hi:[1,1,0]
	v_pk_add_f16 v22, v6, v34
	v_alignbit_b32 v34, s0, v25, 16
	v_pk_fma_f16 v20, 0xbbeb3482, v36, v20 op_sel:[0,0,1] op_sel_hi:[1,1,0] neg_lo:[0,1,0] neg_hi:[0,1,0]
	v_bfi_b32 v5, 0xffff, v21, v5
	v_mul_f16_e32 v72, 0xba0c, v41
	v_pk_mul_f16 v54, 0x3853b482, v41
	v_pk_add_f16 v17, v18, v17
	v_pk_mul_f16 v21, 0x3abbbbad, v43
	v_pk_add_f16 v22, v34, v22
	v_alignbit_b32 v34, s0, v20, 16
	v_pk_fma_f16 v36, 0xba0c3beb, v39, v35 op_sel:[0,0,1] op_sel_hi:[1,1,0] neg_lo:[0,1,0] neg_hi:[0,1,0]
	v_pk_add_f16 v5, v6, v5 op_sel:[1,0] op_sel_hi:[0,1]
	v_bfi_b32 v6, 0xffff, v25, v18
	v_pk_add_f16 v7, v11, v7
	v_bfi_b32 v11, 0xffff, v72, v54
	v_pk_add_f16 v17, v24, v17
	v_pk_fma_f16 v18, 0xba0c3beb, v39, v35 op_sel:[0,0,1] op_sel_hi:[1,1,0]
	v_pk_add_f16 v22, v34, v22
	v_alignbit_b32 v25, s0, v36, 16
	v_pk_fma_f16 v34, 0xb4823853, v41, v21 op_sel:[0,0,1] op_sel_hi:[1,1,0] neg_lo:[0,1,0] neg_hi:[0,1,0]
	v_pk_add_f16 v5, v6, v5
	v_bfi_b32 v6, 0xffff, v20, v24
	v_pk_add_f16 v11, v44, v11 neg_lo:[0,1] neg_hi:[0,1]
	v_pk_add_f16 v17, v18, v17
	v_pk_fma_f16 v20, 0xb4823853, v41, v21 op_sel:[0,0,1] op_sel_hi:[1,1,0]
	v_pk_add_f16 v21, v25, v22
	v_alignbit_b32 v22, s0, v34, 16
	v_pk_add_f16 v5, v6, v5
	v_bfi_b32 v6, 0xffff, v36, v18
	v_add_f16_e32 v23, v46, v23
	v_mad_i32_i24 v46, v4, 44, 0
	v_pk_add_f16 v7, v19, v7
	v_bfi_b32 v11, 0xffff, v11, v26
	v_pk_add_f16 v17, v20, v17
	v_pk_add_f16 v18, v22, v21
	;; [unrolled: 1-line block ×3, first 2 shown]
	v_bfi_b32 v19, 0xffff, v34, v20
	v_perm_b32 v48, v30, v29, 0x5040100
	v_perm_b32 v16, v28, v1, 0x5040100
	ds_store_2addr_b32 v46, v8, v9 offset1:7
	v_pk_add_f16 v5, v11, v7 op_sel:[0,1] op_sel_hi:[1,0]
	v_alignbit_b32 v7, v17, v10, 16
	v_pack_b32_f16 v8, v18, v10
	v_pk_add_f16 v6, v19, v6
	ds_store_2addr_b32 v46, v14, v12 offset0:5 offset1:6
	ds_store_b16 v46, v13 offset:32
	ds_store_2addr_b32 v46, v16, v48 offset0:3 offset1:4
	ds_store_2addr_b32 v46, v8, v7 offset0:1 offset1:2
	ds_store_b64 v46, v[5:6] offset:34
	ds_store_b16 v46, v23 offset:42
.LBB0_15:
	s_wait_alu 0xfffe
	s_or_b32 exec_lo, exec_lo, s1
	v_mad_i32_i24 v17, 0xffffffd8, v0, v15
	v_lshl_add_u32 v16, v4, 2, 0
	global_wb scope:SCOPE_SE
	s_wait_dscnt 0x0
	s_barrier_signal -1
	s_barrier_wait -1
	v_add_nc_u32_e32 v5, 0x200, v17
	v_add_nc_u32_e32 v7, 0x600, v17
	global_inv scope:SCOPE_SE
	ds_load_2addr_b32 v[9:10], v33 offset0:57 offset1:167
	ds_load_b32 v25, v16
	ds_load_2addr_b32 v[5:6], v5 offset0:92 offset1:202
	ds_load_2addr_b32 v[11:12], v32 offset0:21 offset1:131
	ds_load_2addr_b32 v[7:8], v7 offset0:56 offset1:166
	ds_load_2addr_b32 v[13:14], v31 offset0:113 offset1:223
	ds_load_b32 v32, v27 offset:5940
	ds_load_b32 v26, v27
	ds_load_b32 v31, v17 offset:2640
	v_mul_i32_i24_e32 v17, 0xffffffd8, v0
	v_cmp_gt_u32_e64 s0, 55, v0
	s_delay_alu instid0(VALU_DEP_2) | instskip(NEXT) | instid1(VALU_DEP_2)
	v_add_nc_u32_e32 v15, v15, v17
	s_and_saveexec_b32 s1, s0
	s_cbranch_execz .LBB0_17
; %bb.16:
	ds_load_b32 v1, v15 offset:3080
	ds_load_b32 v29, v27 offset:6380
	s_wait_dscnt 0x1
	v_lshrrev_b32_e32 v28, 16, v1
	s_wait_dscnt 0x0
	v_lshrrev_b32_e32 v30, 16, v29
.LBB0_17:
	s_wait_alu 0xfffe
	s_or_b32 exec_lo, exec_lo, s1
	v_and_b32_e32 v18, 0xff, v0
	v_and_b32_e32 v19, 0xff, v4
	v_add_nc_u32_e32 v33, 0x226, v0
	v_add_nc_u32_e32 v34, 0x294, v0
	;; [unrolled: 1-line block ×3, first 2 shown]
	v_mul_lo_u16 v18, 0x75, v18
	v_mul_lo_u16 v22, 0x75, v19
	v_add_nc_u32_e32 v20, 0x14a, v0
	v_add_nc_u32_e32 v17, 0xdc, v0
	v_and_b32_e32 v39, 0xffff, v33
	v_lshrrev_b16 v35, 8, v18
	v_lshrrev_b16 v36, 8, v22
	v_and_b32_e32 v40, 0xffff, v34
	v_and_b32_e32 v24, 0xffff, v21
	v_and_b32_e32 v23, 0xffff, v20
	v_sub_nc_u16 v37, v0, v35
	v_sub_nc_u16 v38, v4, v36
	v_and_b32_e32 v18, 0xffff, v17
	v_mul_u32_u24_e32 v39, 0xba2f, v39
	v_mul_u32_u24_e32 v40, 0xba2f, v40
	v_lshrrev_b16 v37, 1, v37
	v_lshrrev_b16 v38, 1, v38
	v_mul_u32_u24_e32 v24, 0xba2f, v24
	v_mul_u32_u24_e32 v23, 0xba2f, v23
	;; [unrolled: 1-line block ×3, first 2 shown]
	v_and_b32_e32 v37, 0x7f, v37
	v_and_b32_e32 v38, 0x7f, v38
	s_delay_alu instid0(VALU_DEP_4) | instskip(NEXT) | instid1(VALU_DEP_4)
	v_lshrrev_b32_e32 v42, 19, v23
	v_lshrrev_b32_e32 v41, 19, v22
	s_delay_alu instid0(VALU_DEP_4) | instskip(NEXT) | instid1(VALU_DEP_4)
	v_add_nc_u16 v35, v37, v35
	v_add_nc_u16 v36, v38, v36
	v_lshrrev_b32_e32 v38, 19, v39
	v_lshrrev_b32_e32 v39, 19, v40
	;; [unrolled: 1-line block ×3, first 2 shown]
	v_lshrrev_b16 v35, 3, v35
	v_lshrrev_b16 v36, 3, v36
	v_mul_lo_u16 v47, v38, 11
	v_mul_lo_u16 v44, v39, 11
	;; [unrolled: 1-line block ×7, first 2 shown]
	v_sub_nc_u16 v34, v34, v44
	v_sub_nc_u16 v33, v33, v47
	;; [unrolled: 1-line block ×7, first 2 shown]
	v_and_b32_e32 v34, 0xffff, v34
	v_and_b32_e32 v33, 0xffff, v33
	;; [unrolled: 1-line block ×6, first 2 shown]
	v_lshlrev_b32_e32 v34, 2, v34
	v_and_b32_e32 v44, 0xff, v44
	v_lshlrev_b32_e32 v33, 2, v33
	v_lshlrev_b32_e32 v46, 2, v46
	;; [unrolled: 1-line block ×5, first 2 shown]
	s_clause 0x4
	global_load_b32 v47, v34, s[4:5]
	global_load_b32 v48, v33, s[4:5]
	global_load_b32 v49, v46, s[4:5]
	global_load_b32 v50, v43, s[4:5]
	global_load_b32 v51, v40, s[4:5]
	v_lshlrev_b32_e32 v44, 2, v44
	s_clause 0x1
	global_load_b32 v52, v45, s[4:5]
	global_load_b32 v53, v44, s[4:5]
	v_and_b32_e32 v35, 0xffff, v35
	v_mul_u32_u24_e32 v41, 0x58, v41
	v_mul_u32_u24_e32 v42, 0x58, v42
	;; [unrolled: 1-line block ×3, first 2 shown]
	v_and_b32_e32 v36, 0xffff, v36
	v_mul_u32_u24_e32 v39, 0x58, v39
	v_mul_u32_u24_e32 v35, 0x58, v35
	;; [unrolled: 1-line block ×3, first 2 shown]
	v_add3_u32 v40, 0, v41, v40
	v_add3_u32 v41, 0, v42, v43
	v_mul_u32_u24_e32 v36, 0x58, v36
	v_add3_u32 v33, 0, v38, v33
	v_add3_u32 v34, 0, v39, v34
	;; [unrolled: 1-line block ×5, first 2 shown]
	global_wb scope:SCOPE_SE
	s_wait_loadcnt_dscnt 0x0
	s_barrier_signal -1
	s_barrier_wait -1
	global_inv scope:SCOPE_SE
	v_pk_mul_f16 v38, v47, v32 op_sel:[0,1]
	v_pk_mul_f16 v39, v48, v14 op_sel:[0,1]
	;; [unrolled: 1-line block ×5, first 2 shown]
	v_pk_fma_f16 v45, v47, v32, v38 op_sel:[0,0,1] op_sel_hi:[1,1,0] neg_lo:[0,0,1] neg_hi:[0,0,1]
	v_pk_fma_f16 v32, v47, v32, v38 op_sel:[0,0,1] op_sel_hi:[1,0,0]
	v_pk_fma_f16 v38, v48, v14, v39 op_sel:[0,0,1] op_sel_hi:[1,1,0] neg_lo:[0,0,1] neg_hi:[0,0,1]
	v_pk_fma_f16 v14, v48, v14, v39 op_sel:[0,0,1] op_sel_hi:[1,0,0]
	v_pk_fma_f16 v39, v49, v13, v42 op_sel:[0,0,1] op_sel_hi:[1,1,0] neg_lo:[0,0,1] neg_hi:[0,0,1]
	v_pk_fma_f16 v13, v49, v13, v42 op_sel:[0,0,1] op_sel_hi:[1,0,0]
	v_pk_mul_f16 v46, v53, v9 op_sel:[0,1]
	v_pk_fma_f16 v42, v50, v12, v43 op_sel:[0,0,1] op_sel_hi:[1,1,0] neg_lo:[0,0,1] neg_hi:[0,0,1]
	v_pk_fma_f16 v12, v50, v12, v43 op_sel:[0,0,1] op_sel_hi:[1,0,0]
	v_pk_fma_f16 v43, v51, v11, v44 op_sel:[0,0,1] op_sel_hi:[1,1,0] neg_lo:[0,0,1] neg_hi:[0,0,1]
	v_pk_fma_f16 v11, v51, v11, v44 op_sel:[0,0,1] op_sel_hi:[1,0,0]
	v_pk_mul_f16 v44, v52, v10 op_sel:[0,1]
	v_bfi_b32 v13, 0xffff, v39, v13
	v_pk_fma_f16 v39, v53, v9, v46 op_sel:[0,0,1] op_sel_hi:[1,1,0] neg_lo:[0,0,1] neg_hi:[0,0,1]
	v_pk_fma_f16 v9, v53, v9, v46 op_sel:[0,0,1] op_sel_hi:[1,0,0]
	v_bfi_b32 v14, 0xffff, v38, v14
	v_pk_fma_f16 v38, v52, v10, v44 op_sel:[0,0,1] op_sel_hi:[1,1,0] neg_lo:[0,0,1] neg_hi:[0,0,1]
	v_pk_fma_f16 v10, v52, v10, v44 op_sel:[0,0,1] op_sel_hi:[1,0,0]
	v_bfi_b32 v11, 0xffff, v43, v11
	v_bfi_b32 v9, 0xffff, v39, v9
	;; [unrolled: 1-line block ×5, first 2 shown]
	v_pk_add_f16 v11, v5, v11 neg_lo:[0,1] neg_hi:[0,1]
	v_pk_add_f16 v9, v26, v9 neg_lo:[0,1] neg_hi:[0,1]
	;; [unrolled: 1-line block ×7, first 2 shown]
	v_pk_fma_f16 v26, v26, 2.0, v9 op_sel_hi:[1,0,1] neg_lo:[0,0,1] neg_hi:[0,0,1]
	v_pk_fma_f16 v5, v5, 2.0, v11 op_sel_hi:[1,0,1] neg_lo:[0,0,1] neg_hi:[0,0,1]
	;; [unrolled: 1-line block ×7, first 2 shown]
	ds_store_2addr_b32 v35, v26, v9 offset1:11
	ds_store_2addr_b32 v36, v25, v10 offset1:11
	;; [unrolled: 1-line block ×7, first 2 shown]
	s_and_saveexec_b32 s1, s0
	s_cbranch_execz .LBB0_19
; %bb.18:
	v_add_nc_u32_e32 v5, 0x302, v0
	s_delay_alu instid0(VALU_DEP_1) | instskip(NEXT) | instid1(VALU_DEP_1)
	v_and_b32_e32 v6, 0xffff, v5
	v_mul_u32_u24_e32 v6, 0xba2f, v6
	s_delay_alu instid0(VALU_DEP_1) | instskip(NEXT) | instid1(VALU_DEP_1)
	v_lshrrev_b32_e32 v6, 19, v6
	v_mul_lo_u16 v7, v6, 11
	v_mul_lo_u16 v6, v6, 22
	s_delay_alu instid0(VALU_DEP_2) | instskip(NEXT) | instid1(VALU_DEP_2)
	v_sub_nc_u16 v5, v5, v7
	v_and_b32_e32 v6, 0xffff, v6
	s_delay_alu instid0(VALU_DEP_2) | instskip(NEXT) | instid1(VALU_DEP_2)
	v_and_b32_e32 v5, 0xffff, v5
	v_lshlrev_b32_e32 v6, 2, v6
	s_delay_alu instid0(VALU_DEP_2) | instskip(SKIP_4) | instid1(VALU_DEP_1)
	v_lshlrev_b32_e32 v5, 2, v5
	global_load_b32 v7, v5, s[4:5]
	v_add3_u32 v5, 0, v5, v6
	s_wait_loadcnt 0x0
	v_lshrrev_b32_e32 v8, 16, v7
	v_mul_f16_e32 v9, v30, v8
	v_mul_f16_e32 v8, v29, v8
	s_delay_alu instid0(VALU_DEP_2) | instskip(NEXT) | instid1(VALU_DEP_2)
	v_fma_f16 v9, v29, v7, -v9
	v_fmac_f16_e32 v8, v30, v7
	s_delay_alu instid0(VALU_DEP_2) | instskip(NEXT) | instid1(VALU_DEP_2)
	v_sub_f16_e32 v7, v1, v9
	v_sub_f16_e32 v8, v28, v8
	s_delay_alu instid0(VALU_DEP_2) | instskip(NEXT) | instid1(VALU_DEP_2)
	v_fma_f16 v1, v1, 2.0, -v7
	v_fma_f16 v9, v28, 2.0, -v8
	v_pack_b32_f16 v6, v7, v8
	s_delay_alu instid0(VALU_DEP_2)
	v_pack_b32_f16 v1, v1, v9
	ds_store_2addr_b32 v5, v1, v6 offset1:11
.LBB0_19:
	s_wait_alu 0xfffe
	s_or_b32 exec_lo, exec_lo, s1
	v_lshrrev_b16 v1, 1, v0
	v_lshrrev_b32_e32 v14, 20, v24
	v_lshrrev_b16 v6, 1, v19
	v_lshrrev_b32_e32 v41, 20, v23
	global_wb scope:SCOPE_SE
	s_wait_dscnt 0x0
	v_and_b32_e32 v1, 0x7f, v1
	v_mul_lo_u16 v5, v14, 22
	v_mul_lo_u16 v6, 0xbb, v6
	;; [unrolled: 1-line block ×3, first 2 shown]
	s_barrier_signal -1
	v_mul_lo_u16 v1, 0xbb, v1
	v_sub_nc_u16 v5, v21, v5
	v_lshrrev_b16 v40, 11, v6
	s_barrier_wait -1
	global_inv scope:SCOPE_SE
	v_lshrrev_b16 v26, 11, v1
	v_and_b32_e32 v42, 0xffff, v5
	v_lshrrev_b32_e32 v5, 20, v22
	v_mul_lo_u16 v7, v40, 22
	v_add_nc_u32_e32 v12, 0x600, v15
	v_mul_lo_u16 v1, v26, 22
	v_lshlrev_b32_e32 v6, 3, v42
	v_mul_lo_u16 v10, v5, 22
	v_add_nc_u32_e32 v13, 0x1000, v27
	v_add_nc_u32_e32 v32, 0xa00, v27
	v_sub_nc_u16 v1, v0, v1
	global_load_b64 v[8:9], v6, s[4:5] offset:44
	v_sub_nc_u16 v6, v4, v7
	v_sub_nc_u16 v7, v17, v10
	v_add_nc_u32_e32 v36, 0x1400, v27
	v_and_b32_e32 v43, 0xff, v1
	v_sub_nc_u16 v1, v20, v11
	v_and_b32_e32 v44, 0xff, v6
	v_and_b32_e32 v45, 0xffff, v7
	v_mul_lo_u16 v19, 0xf9, v19
	v_lshlrev_b32_e32 v6, 3, v43
	v_and_b32_e32 v46, 0xffff, v1
	v_lshlrev_b32_e32 v1, 3, v44
	v_lshlrev_b32_e32 v7, 3, v45
	v_mul_u32_u24_e32 v51, 0x108, v41
	global_load_b64 v[10:11], v6, s[4:5] offset:44
	v_lshlrev_b32_e32 v6, 3, v46
	v_mul_u32_u24_e32 v52, 0x108, v14
	s_clause 0x2
	global_load_b64 v[20:21], v1, s[4:5] offset:44
	global_load_b64 v[22:23], v7, s[4:5] offset:44
	;; [unrolled: 1-line block ×3, first 2 shown]
	v_add_nc_u32_e32 v1, 0x200, v15
	ds_load_b32 v47, v16
	v_add_nc_u32_e32 v7, 0xc00, v27
	ds_load_b32 v48, v27
	ds_load_b32 v49, v27 offset:6160
	ds_load_2addr_b32 v[28:29], v12 offset0:56 offset1:166
	ds_load_2addr_b32 v[30:31], v13 offset0:76 offset1:186
	;; [unrolled: 1-line block ×6, first 2 shown]
	v_lshrrev_b16 v12, 14, v19
	v_mul_u32_u24_e32 v19, 0x108, v5
	v_and_b32_e32 v14, 0xffff, v40
	v_lshlrev_b32_e32 v45, 2, v45
	v_lshlrev_b32_e32 v46, 2, v46
	;; [unrolled: 1-line block ×3, first 2 shown]
	v_and_b32_e32 v26, 0xffff, v26
	v_mul_u32_u24_e32 v56, 0x108, v14
	v_add3_u32 v19, 0, v19, v45
	v_lshlrev_b32_e32 v44, 2, v44
	v_add3_u32 v45, 0, v51, v46
	v_add3_u32 v42, 0, v52, v42
	v_add_nc_u32_e32 v50, 0xffffffbe, v0
	v_mul_u32_u24_e32 v18, 0xf83f, v18
	v_cmp_gt_u32_e64 s1, 0x42, v0
	v_mul_u32_u24_e32 v26, 0x108, v26
	v_lshlrev_b32_e32 v43, 2, v43
	v_add3_u32 v44, 0, v56, v44
	s_wait_dscnt 0x6
	v_lshrrev_b32_e32 v55, 16, v49
	s_wait_dscnt 0x0
	v_lshrrev_b32_e32 v63, 16, v39
	s_wait_alu 0xf1ff
	v_cndmask_b32_e64 v50, v50, v0, s1
	v_lshrrev_b32_e32 v13, 22, v18
	v_lshrrev_b32_e32 v64, 16, v29
	;; [unrolled: 1-line block ×3, first 2 shown]
	v_add3_u32 v26, 0, v26, v43
	v_lshrrev_b32_e32 v62, 16, v28
	v_lshrrev_b32_e32 v66, 16, v32
	v_lshrrev_b32_e32 v67, 16, v31
	v_lshlrev_b32_e32 v5, 2, v50
	v_mul_lo_u16 v18, 0x42, v12
	v_mul_lo_u16 v50, 0x42, v13
	v_lshrrev_b32_e32 v57, 16, v33
	v_lshrrev_b32_e32 v58, 16, v36
	;; [unrolled: 1-line block ×4, first 2 shown]
	v_sub_nc_u16 v18, v4, v18
	v_sub_nc_u16 v50, v17, v50
	v_lshrrev_b32_e32 v53, 16, v48
	v_lshrrev_b32_e32 v54, 16, v47
	;; [unrolled: 1-line block ×3, first 2 shown]
	v_and_b32_e32 v14, 0xff, v18
	v_and_b32_e32 v18, 0xffff, v50
	v_lshrrev_b32_e32 v50, 16, v34
	v_mov_b32_e32 v6, 0
	global_wb scope:SCOPE_SE
	s_wait_loadcnt 0x0
	v_lshlrev_b32_e32 v46, 4, v14
	s_barrier_signal -1
	s_barrier_wait -1
	v_lshlrev_b64_e32 v[40:41], 2, v[5:6]
	global_inv scope:SCOPE_SE
	v_lshlrev_b32_e32 v14, 2, v14
	s_mov_b32 s2, exec_lo
	v_add_co_u32 v40, s1, s4, v40
	s_wait_alu 0xf1ff
	v_add_co_ci_u32_e64 v41, s1, s5, v41, s1
	v_cmp_lt_u32_e64 s1, 0x41, v0
	v_lshrrev_b32_e32 v51, 16, v8
	v_lshrrev_b32_e32 v52, 16, v9
	s_delay_alu instid0(VALU_DEP_2) | instskip(SKIP_1) | instid1(VALU_DEP_3)
	v_mul_f16_e32 v56, v63, v51
	v_mul_f16_e32 v51, v39, v51
	;; [unrolled: 1-line block ×4, first 2 shown]
	s_delay_alu instid0(VALU_DEP_4) | instskip(NEXT) | instid1(VALU_DEP_4)
	v_fma_f16 v39, v39, v8, -v56
	v_fmac_f16_e32 v51, v63, v8
	s_delay_alu instid0(VALU_DEP_4) | instskip(NEXT) | instid1(VALU_DEP_4)
	v_fma_f16 v8, v49, v9, -v68
	v_fmac_f16_e32 v52, v55, v9
	v_lshrrev_b32_e32 v9, 16, v10
	v_lshrrev_b32_e32 v43, 16, v11
	;; [unrolled: 1-line block ×8, first 2 shown]
	v_mul_f16_e32 v74, v9, v64
	v_mul_f16_e32 v9, v9, v29
	;; [unrolled: 1-line block ×4, first 2 shown]
	v_sub_f16_e32 v72, v51, v52
	v_add_f16_e32 v73, v62, v51
	v_add_f16_e32 v51, v51, v52
	v_mul_f16_e32 v76, v49, v66
	v_mul_f16_e32 v49, v49, v32
	;; [unrolled: 1-line block ×12, first 2 shown]
	v_add_f16_e32 v71, v39, v8
	v_fma_f16 v29, v10, v29, -v74
	v_fmac_f16_e32 v9, v10, v64
	v_fma_f16 v10, v11, v30, -v75
	v_fmac_f16_e32 v43, v11, v65
	v_add_f16_e32 v70, v28, v39
	v_sub_f16_e32 v39, v39, v8
	v_fmac_f16_e32 v62, -0.5, v51
	v_fma_f16 v11, v20, v32, -v76
	v_fmac_f16_e32 v49, v20, v66
	v_fma_f16 v20, v21, v31, -v77
	v_fmac_f16_e32 v55, v21, v67
	;; [unrolled: 2-line block ×6, first 2 shown]
	v_fmac_f16_e32 v28, -0.5, v71
	v_add_f16_e32 v32, v29, v10
	v_sub_f16_e32 v33, v9, v43
	v_add_f16_e32 v36, v53, v9
	v_add_f16_e32 v9, v9, v43
	;; [unrolled: 1-line block ×4, first 2 shown]
	v_fmamk_f16 v30, v39, 0xbaee, v62
	v_fmac_f16_e32 v62, 0x3aee, v39
	v_add_f16_e32 v38, v11, v20
	v_sub_f16_e32 v39, v49, v55
	v_add_f16_e32 v51, v54, v49
	v_add_f16_e32 v49, v49, v55
	;; [unrolled: 1-line block ×4, first 2 shown]
	v_sub_f16_e32 v58, v56, v63
	v_add_f16_e32 v60, v50, v56
	v_add_f16_e32 v56, v56, v63
	;; [unrolled: 1-line block ×4, first 2 shown]
	v_fmamk_f16 v25, v72, 0x3aee, v28
	v_sub_f16_e32 v29, v29, v10
	v_fmac_f16_e32 v48, -0.5, v32
	v_fmac_f16_e32 v53, -0.5, v9
	v_pack_b32_f16 v8, v8, v52
	v_add_f16_e32 v37, v47, v11
	v_add_f16_e32 v52, v34, v21
	;; [unrolled: 1-line block ×4, first 2 shown]
	v_sub_f16_e32 v11, v11, v20
	v_fmac_f16_e32 v47, -0.5, v38
	v_fmac_f16_e32 v54, -0.5, v49
	v_sub_f16_e32 v21, v21, v22
	v_sub_f16_e32 v65, v68, v69
	;; [unrolled: 1-line block ×3, first 2 shown]
	v_add_f16_e32 v10, v31, v10
	v_fma_f16 v31, -0.5, v57, v34
	v_fmac_f16_e32 v50, -0.5, v56
	v_fmac_f16_e32 v35, -0.5, v64
	;; [unrolled: 1-line block ×3, first 2 shown]
	v_pack_b32_f16 v25, v25, v30
	v_add_f16_e32 v30, v36, v43
	v_fmamk_f16 v36, v33, 0x3aee, v48
	v_fmac_f16_e32 v48, 0xbaee, v33
	v_fmamk_f16 v33, v29, 0xbaee, v53
	v_add_f16_e32 v9, v37, v20
	v_add_f16_e32 v20, v51, v55
	v_add_f16_e32 v22, v52, v22
	v_add_f16_e32 v32, v60, v63
	v_add_f16_e32 v24, v61, v24
	v_add_f16_e32 v34, v66, v69
	v_fmac_f16_e32 v53, 0x3aee, v29
	v_fmamk_f16 v29, v39, 0x3aee, v47
	v_fmamk_f16 v37, v11, 0xbaee, v54
	v_fmac_f16_e32 v47, 0xbaee, v39
	v_fmac_f16_e32 v54, 0x3aee, v11
	v_fmamk_f16 v11, v58, 0x3aee, v31
	v_fmamk_f16 v38, v21, 0xbaee, v50
	v_fmac_f16_e32 v50, 0x3aee, v21
	v_fmamk_f16 v21, v65, 0x3aee, v35
	v_fmamk_f16 v39, v23, 0xbaee, v59
	v_fmac_f16_e32 v28, 0xbaee, v72
	v_fmac_f16_e32 v31, 0xbaee, v58
	;; [unrolled: 1-line block ×4, first 2 shown]
	v_pack_b32_f16 v10, v10, v30
	v_pack_b32_f16 v23, v36, v33
	;; [unrolled: 1-line block ×13, first 2 shown]
	v_mov_b32_e32 v35, v6
	ds_store_2addr_b32 v26, v10, v23 offset1:22
	ds_store_b32 v26, v24 offset:176
	ds_store_2addr_b32 v44, v9, v29 offset1:22
	ds_store_b32 v44, v30 offset:176
	;; [unrolled: 2-line block ×5, first 2 shown]
	global_wb scope:SCOPE_SE
	s_wait_dscnt 0x0
	s_barrier_signal -1
	s_barrier_wait -1
	global_inv scope:SCOPE_SE
	global_load_b128 v[19:22], v[40:41], off offset:220
	v_lshlrev_b32_e32 v8, 4, v18
	s_clause 0x1
	global_load_b128 v[23:26], v46, s[4:5] offset:220
	global_load_b128 v[28:31], v8, s[4:5] offset:220
	v_lshlrev_b32_e32 v34, 2, v17
	s_wait_alu 0xf1ff
	v_cndmask_b32_e64 v17, 0, 0x528, s1
	v_and_b32_e32 v36, 0xffff, v12
	v_add_nc_u32_e32 v8, 0xe00, v27
	v_add_nc_u32_e32 v11, 0x1600, v27
	;; [unrolled: 1-line block ×4, first 2 shown]
	v_add3_u32 v47, 0, v17, v5
	v_mul_u32_u24_e32 v48, 0x528, v36
	v_lshlrev_b32_e32 v49, 2, v18
	ds_load_b32 v50, v27
	ds_load_b32 v51, v16
	ds_load_2addr_b32 v[17:18], v7 offset0:2 offset1:112
	ds_load_2addr_b32 v[36:37], v8 offset0:94 offset1:204
	;; [unrolled: 1-line block ×6, first 2 shown]
	ds_load_u16 v52, v27 offset:1762
	ds_load_b32 v53, v15 offset:2640
	v_mul_u32_u24_e32 v46, 0x528, v13
	v_lshlrev_b32_e32 v32, 2, v4
	v_add3_u32 v14, 0, v48, v14
	v_mov_b32_e32 v33, v6
	v_lshlrev_b32_e32 v5, 2, v0
	v_add3_u32 v46, 0, v46, v49
	global_wb scope:SCOPE_SE
	s_wait_loadcnt_dscnt 0x0
	s_barrier_signal -1
	v_lshlrev_b64_e32 v[12:13], 2, v[32:33]
	v_lshlrev_b64_e32 v[32:33], 2, v[34:35]
	v_lshrrev_b32_e32 v48, 16, v50
	v_lshrrev_b32_e32 v49, 16, v51
	;; [unrolled: 1-line block ×14, first 2 shown]
	v_lshlrev_b64_e32 v[34:35], 2, v[5:6]
	v_add_co_u32 v12, s1, s4, v12
	s_wait_alu 0xf1ff
	v_add_co_ci_u32_e64 v13, s1, s5, v13, s1
	s_barrier_wait -1
	s_delay_alu instid0(VALU_DEP_3)
	v_add_co_u32 v34, s1, s4, v34
	s_wait_alu 0xf1ff
	v_add_co_ci_u32_e64 v35, s1, s5, v35, s1
	global_inv scope:SCOPE_SE
	v_lshrrev_b32_e32 v66, 16, v19
	v_lshrrev_b32_e32 v67, 16, v20
	;; [unrolled: 1-line block ×12, first 2 shown]
	v_mul_f16_e32 v78, v66, v62
	v_mul_f16_e32 v66, v66, v41
	;; [unrolled: 1-line block ×24, first 2 shown]
	v_fma_f16 v41, v19, v41, -v78
	v_fmac_f16_e32 v66, v19, v62
	v_fma_f16 v19, v20, v53, -v79
	v_fmac_f16_e32 v67, v20, v63
	;; [unrolled: 2-line block ×12, first 2 shown]
	v_add_f16_e32 v29, v50, v41
	v_add_f16_e32 v30, v19, v20
	v_sub_f16_e32 v37, v41, v19
	v_sub_f16_e32 v38, v21, v20
	v_add_f16_e32 v39, v41, v21
	v_add_f16_e32 v44, v48, v66
	;; [unrolled: 1-line block ×4, first 2 shown]
	v_sub_f16_e32 v42, v19, v41
	v_sub_f16_e32 v43, v20, v21
	;; [unrolled: 1-line block ×4, first 2 shown]
	v_add_f16_e32 v59, v51, v22
	v_add_f16_e32 v60, v17, v23
	;; [unrolled: 1-line block ×6, first 2 shown]
	v_sub_f16_e32 v31, v66, v69
	v_sub_f16_e32 v41, v41, v21
	v_sub_f16_e32 v52, v19, v20
	v_sub_f16_e32 v63, v22, v17
	v_sub_f16_e32 v64, v24, v23
	v_add_f16_e32 v86, v40, v25
	v_add_f16_e32 v87, v18, v26
	;; [unrolled: 1-line block ×7, first 2 shown]
	v_fma_f16 v29, -0.5, v30, v50
	v_add_f16_e32 v30, v37, v38
	v_fmac_f16_e32 v50, -0.5, v39
	v_add_f16_e32 v38, v44, v67
	v_fma_f16 v39, -0.5, v45, v48
	v_sub_f16_e32 v36, v67, v68
	v_sub_f16_e32 v56, v67, v66
	;; [unrolled: 1-line block ×7, first 2 shown]
	v_fmac_f16_e32 v48, -0.5, v55
	v_sub_f16_e32 v66, v17, v22
	v_sub_f16_e32 v22, v22, v24
	;; [unrolled: 1-line block ×3, first 2 shown]
	v_add_f16_e32 v37, v42, v43
	v_add_f16_e32 v42, v53, v54
	;; [unrolled: 1-line block ×3, first 2 shown]
	v_fma_f16 v44, -0.5, v60, v51
	v_add_f16_e32 v54, v79, v71
	v_fma_f16 v55, -0.5, v80, v49
	v_sub_f16_e32 v62, v71, v72
	v_sub_f16_e32 v88, v74, v77
	;; [unrolled: 1-line block ×5, first 2 shown]
	v_fmac_f16_e32 v51, -0.5, v65
	v_fmac_f16_e32 v49, -0.5, v84
	v_sub_f16_e32 v78, v23, v24
	v_sub_f16_e32 v89, v75, v76
	;; [unrolled: 1-line block ×6, first 2 shown]
	v_add_f16_e32 v45, v63, v64
	v_add_f16_e32 v18, v86, v18
	v_fma_f16 v59, -0.5, v87, v40
	v_fmac_f16_e32 v40, -0.5, v92
	v_add_f16_e32 v64, v95, v75
	v_fma_f16 v65, -0.5, v96, v57
	v_fmac_f16_e32 v57, -0.5, v100
	v_add_f16_e32 v19, v19, v20
	v_fmamk_f16 v20, v31, 0x3b9c, v29
	v_add_f16_e32 v38, v38, v68
	v_fmamk_f16 v68, v41, 0xbb9c, v39
	v_add_f16_e32 v43, v56, v58
	v_add_f16_e32 v58, v70, v85
	v_fmamk_f16 v70, v36, 0xbb9c, v50
	v_fmac_f16_e32 v50, 0x3b9c, v36
	v_fmamk_f16 v71, v52, 0x3b9c, v48
	v_fmac_f16_e32 v48, 0xbb9c, v52
	v_fmac_f16_e32 v29, 0xbb9c, v31
	;; [unrolled: 1-line block ×3, first 2 shown]
	v_sub_f16_e32 v83, v73, v72
	v_add_f16_e32 v17, v17, v23
	v_fmamk_f16 v23, v61, 0x3b9c, v44
	v_add_f16_e32 v54, v54, v72
	v_fmamk_f16 v72, v22, 0xbb9c, v55
	;; [unrolled: 2-line block ×3, first 2 shown]
	v_fmac_f16_e32 v51, 0x3b9c, v62
	v_fmamk_f16 v75, v81, 0x3b9c, v49
	v_fmac_f16_e32 v49, 0xbb9c, v81
	v_sub_f16_e32 v91, v28, v26
	v_sub_f16_e32 v94, v26, v28
	;; [unrolled: 1-line block ×3, first 2 shown]
	v_add_f16_e32 v53, v66, v78
	v_fmac_f16_e32 v44, 0xbb9c, v61
	v_fmac_f16_e32 v55, 0x3b9c, v22
	v_add_f16_e32 v18, v18, v26
	v_fmamk_f16 v26, v88, 0x3b9c, v59
	v_fmac_f16_e32 v59, 0xbb9c, v88
	v_fmamk_f16 v78, v89, 0xbb9c, v40
	v_fmac_f16_e32 v40, 0x3b9c, v89
	v_add_f16_e32 v64, v64, v76
	v_fmamk_f16 v76, v25, 0xbb9c, v65
	v_fmac_f16_e32 v65, 0x3b9c, v25
	v_fmamk_f16 v79, v97, 0x3b9c, v57
	v_fmac_f16_e32 v57, 0xbb9c, v97
	v_fmac_f16_e32 v20, 0x38b4, v36
	;; [unrolled: 1-line block ×9, first 2 shown]
	v_add_f16_e32 v56, v82, v83
	v_fmac_f16_e32 v23, 0x38b4, v62
	v_fmac_f16_e32 v72, 0xb8b4, v81
	;; [unrolled: 1-line block ×6, first 2 shown]
	v_add_f16_e32 v60, v90, v91
	v_add_f16_e32 v63, v93, v94
	;; [unrolled: 1-line block ×5, first 2 shown]
	v_fmac_f16_e32 v44, 0xb8b4, v62
	v_fmac_f16_e32 v55, 0x38b4, v81
	;; [unrolled: 1-line block ×12, first 2 shown]
	v_add_f16_e32 v18, v18, v28
	v_add_f16_e32 v22, v64, v77
	v_fmac_f16_e32 v70, 0x34f2, v37
	v_fmac_f16_e32 v50, 0x34f2, v37
	;; [unrolled: 1-line block ×4, first 2 shown]
	v_add_f16_e32 v17, v17, v24
	v_add_f16_e32 v24, v54, v73
	v_fmac_f16_e32 v29, 0x34f2, v30
	v_fmac_f16_e32 v39, 0x34f2, v42
	;; [unrolled: 1-line block ×18, first 2 shown]
	v_pack_b32_f16 v19, v19, v21
	v_pack_b32_f16 v20, v20, v68
	;; [unrolled: 1-line block ×15, first 2 shown]
	ds_store_2addr_b32 v47, v19, v20 offset1:66
	ds_store_2addr_b32 v47, v21, v22 offset0:132 offset1:198
	ds_store_b32 v47, v24 offset:1056
	ds_store_2addr_b32 v14, v17, v23 offset1:66
	ds_store_2addr_b32 v14, v25, v28 offset0:132 offset1:198
	ds_store_b32 v14, v29 offset:1056
	;; [unrolled: 3-line block ×3, first 2 shown]
	v_add_co_u32 v25, s1, s4, v32
	global_wb scope:SCOPE_SE
	s_wait_dscnt 0x0
	s_barrier_signal -1
	s_barrier_wait -1
	global_inv scope:SCOPE_SE
	global_load_b128 v[17:20], v[34:35], off offset:1276
	s_wait_alu 0xf1ff
	v_add_co_ci_u32_e64 v26, s1, s5, v33, s1
	s_clause 0x1
	global_load_b128 v[21:24], v[12:13], off offset:1276
	global_load_b128 v[28:31], v[25:26], off offset:1276
	ds_load_b32 v13, v27
	ds_load_b32 v12, v16
	ds_load_2addr_b32 v[25:26], v7 offset0:2 offset1:112
	ds_load_2addr_b32 v[32:33], v8 offset0:94 offset1:204
	;; [unrolled: 1-line block ×6, first 2 shown]
	ds_load_u16 v1, v27 offset:1762
	ds_load_b32 v9, v15 offset:2640
	global_wb scope:SCOPE_SE
	s_wait_loadcnt_dscnt 0x0
	s_barrier_signal -1
	s_barrier_wait -1
	global_inv scope:SCOPE_SE
	v_lshrrev_b32_e32 v14, 16, v13
	v_lshrrev_b32_e32 v38, 16, v12
	;; [unrolled: 1-line block ×26, first 2 shown]
	v_mul_f16_e32 v63, v51, v47
	v_mul_f16_e32 v51, v51, v8
	;; [unrolled: 1-line block ×24, first 2 shown]
	v_fma_f16 v8, v17, v8, -v63
	v_fmac_f16_e32 v51, v17, v47
	v_fma_f16 v9, v18, v9, -v64
	v_fmac_f16_e32 v52, v18, v48
	;; [unrolled: 2-line block ×12, first 2 shown]
	v_add_f16_e32 v24, v13, v8
	v_add_f16_e32 v25, v9, v17
	v_sub_f16_e32 v29, v8, v9
	v_sub_f16_e32 v30, v18, v17
	v_add_f16_e32 v31, v8, v18
	v_add_f16_e32 v34, v14, v51
	;; [unrolled: 1-line block ×4, first 2 shown]
	v_sub_f16_e32 v32, v9, v8
	v_sub_f16_e32 v33, v17, v18
	;; [unrolled: 1-line block ×4, first 2 shown]
	v_add_f16_e32 v44, v12, v10
	v_add_f16_e32 v45, v1, v19
	v_sub_f16_e32 v48, v10, v1
	v_sub_f16_e32 v49, v20, v19
	v_add_f16_e32 v50, v10, v20
	v_add_f16_e32 v64, v38, v55
	;; [unrolled: 1-line block ×10, first 2 shown]
	v_sub_f16_e32 v26, v51, v54
	v_sub_f16_e32 v8, v8, v18
	;; [unrolled: 1-line block ×3, first 2 shown]
	v_add_f16_e32 v9, v24, v9
	v_fma_f16 v24, -0.5, v25, v13
	v_add_f16_e32 v25, v29, v30
	v_fmac_f16_e32 v13, -0.5, v31
	v_add_f16_e32 v30, v34, v52
	v_fma_f16 v31, -0.5, v35, v14
	v_sub_f16_e32 v28, v52, v53
	v_sub_f16_e32 v41, v52, v51
	;; [unrolled: 1-line block ×7, first 2 shown]
	v_fmac_f16_e32 v14, -0.5, v40
	v_sub_f16_e32 v47, v56, v57
	v_sub_f16_e32 v51, v1, v10
	;; [unrolled: 1-line block ×14, first 2 shown]
	v_add_f16_e32 v29, v32, v33
	v_add_f16_e32 v32, v37, v39
	;; [unrolled: 1-line block ×3, first 2 shown]
	v_fma_f16 v34, -0.5, v45, v12
	v_add_f16_e32 v35, v48, v49
	v_fmac_f16_e32 v12, -0.5, v50
	v_add_f16_e32 v39, v64, v56
	v_fma_f16 v40, -0.5, v65, v38
	v_fmac_f16_e32 v38, -0.5, v69
	v_add_f16_e32 v21, v71, v21
	v_fma_f16 v44, -0.5, v72, v7
	;; [unrolled: 3-line block ×3, first 2 shown]
	v_fmac_f16_e32 v42, -0.5, v85
	v_add_f16_e32 v9, v9, v17
	v_fmamk_f16 v17, v26, 0x3b9c, v24
	v_add_f16_e32 v30, v30, v53
	v_fmamk_f16 v53, v8, 0xbb9c, v31
	v_add_f16_e32 v33, v41, v43
	v_add_f16_e32 v43, v55, v70
	v_fmamk_f16 v55, v28, 0xbb9c, v13
	v_fmamk_f16 v56, v36, 0x3b9c, v14
	v_fmac_f16_e32 v13, 0x3b9c, v28
	v_fmac_f16_e32 v14, 0xbb9c, v36
	;; [unrolled: 1-line block ×4, first 2 shown]
	v_sub_f16_e32 v68, v58, v57
	v_sub_f16_e32 v76, v23, v22
	;; [unrolled: 1-line block ×4, first 2 shown]
	v_add_f16_e32 v37, v51, v63
	v_add_f16_e32 v52, v59, v86
	;; [unrolled: 1-line block ×3, first 2 shown]
	v_fmamk_f16 v19, v46, 0x3b9c, v34
	v_fmac_f16_e32 v34, 0xbb9c, v46
	v_fmamk_f16 v59, v47, 0xbb9c, v12
	v_fmac_f16_e32 v12, 0x3b9c, v47
	v_add_f16_e32 v39, v39, v57
	v_fmamk_f16 v57, v10, 0xbb9c, v40
	v_fmac_f16_e32 v40, 0x3b9c, v10
	v_fmamk_f16 v60, v66, 0x3b9c, v38
	v_fmac_f16_e32 v38, 0xbb9c, v66
	v_add_f16_e32 v21, v21, v22
	;; [unrolled: 5-line block ×3, first 2 shown]
	v_fmamk_f16 v61, v11, 0xbb9c, v50
	v_fmac_f16_e32 v50, 0x3b9c, v11
	v_fmamk_f16 v64, v82, 0x3b9c, v42
	v_fmac_f16_e32 v42, 0xbb9c, v82
	v_fmac_f16_e32 v17, 0x38b4, v28
	;; [unrolled: 1-line block ×9, first 2 shown]
	v_add_f16_e32 v41, v67, v68
	v_add_f16_e32 v45, v75, v76
	;; [unrolled: 1-line block ×6, first 2 shown]
	v_fmac_f16_e32 v19, 0x38b4, v47
	v_fmac_f16_e32 v34, 0xb8b4, v47
	;; [unrolled: 1-line block ×16, first 2 shown]
	v_add_f16_e32 v1, v1, v20
	v_add_f16_e32 v8, v39, v58
	;; [unrolled: 1-line block ×4, first 2 shown]
	v_fmac_f16_e32 v17, 0x34f2, v25
	v_fmac_f16_e32 v53, 0x34f2, v32
	;; [unrolled: 1-line block ×24, first 2 shown]
	v_pack_b32_f16 v9, v9, v18
	v_pack_b32_f16 v1, v1, v8
	v_pack_b32_f16 v8, v10, v20
	v_pack_b32_f16 v10, v17, v53
	v_pack_b32_f16 v11, v55, v56
	v_pack_b32_f16 v13, v13, v14
	v_pack_b32_f16 v14, v24, v31
	v_pack_b32_f16 v17, v19, v57
	v_pack_b32_f16 v18, v59, v60
	v_pack_b32_f16 v12, v12, v38
	v_pack_b32_f16 v19, v34, v40
	v_pack_b32_f16 v20, v22, v61
	v_pack_b32_f16 v21, v63, v64
	v_pack_b32_f16 v7, v7, v42
	v_pack_b32_f16 v22, v44, v50
	ds_store_b32 v27, v9
	ds_store_b32 v27, v10 offset:1320
	ds_store_b32 v27, v11 offset:2640
	;; [unrolled: 1-line block ×4, first 2 shown]
	ds_store_b32 v16, v1
	ds_store_b32 v16, v17 offset:1320
	ds_store_b32 v16, v18 offset:2640
	;; [unrolled: 1-line block ×9, first 2 shown]
	global_wb scope:SCOPE_SE
	s_wait_dscnt 0x0
	s_barrier_signal -1
	s_barrier_wait -1
	global_inv scope:SCOPE_SE
	ds_load_b32 v13, v27
	v_sub_nc_u32_e32 v9, 0, v5
                                        ; implicit-def: $vgpr12
                                        ; implicit-def: $vgpr11
                                        ; implicit-def: $vgpr10
                                        ; implicit-def: $vgpr7_vgpr8
	s_wait_dscnt 0x0
	v_lshrrev_b32_e32 v5, 16, v13
	v_cmpx_ne_u32_e32 0, v0
	s_wait_alu 0xfffe
	s_xor_b32 s2, exec_lo, s2
	s_cbranch_execz .LBB0_21
; %bb.20:
	v_mov_b32_e32 v1, v6
	s_delay_alu instid0(VALU_DEP_1) | instskip(NEXT) | instid1(VALU_DEP_1)
	v_lshlrev_b64_e32 v[6:7], 2, v[0:1]
	v_add_co_u32 v6, s1, s4, v6
	s_wait_alu 0xf1ff
	s_delay_alu instid0(VALU_DEP_2)
	v_add_co_ci_u32_e64 v7, s1, s5, v7, s1
	global_load_b32 v6, v[6:7], off offset:6556
	ds_load_b32 v7, v9 offset:6600
	s_wait_dscnt 0x0
	v_lshrrev_b32_e32 v8, 16, v7
	v_sub_f16_e32 v10, v13, v7
	v_add_f16_e32 v7, v7, v13
	s_delay_alu instid0(VALU_DEP_3) | instskip(SKIP_1) | instid1(VALU_DEP_4)
	v_add_f16_e32 v11, v8, v5
	v_sub_f16_e32 v5, v5, v8
	v_mul_f16_e32 v8, 0.5, v10
	s_delay_alu instid0(VALU_DEP_3) | instskip(NEXT) | instid1(VALU_DEP_3)
	v_mul_f16_e32 v11, 0.5, v11
	v_mul_f16_e32 v5, 0.5, v5
	s_wait_loadcnt 0x0
	v_lshrrev_b32_e32 v10, 16, v6
	s_delay_alu instid0(VALU_DEP_1) | instskip(NEXT) | instid1(VALU_DEP_3)
	v_mul_f16_e32 v12, v10, v8
	v_fma_f16 v13, v11, v10, v5
	v_fma_f16 v5, v11, v10, -v5
	s_delay_alu instid0(VALU_DEP_3) | instskip(SKIP_1) | instid1(VALU_DEP_4)
	v_fma_f16 v14, 0.5, v7, v12
	v_fma_f16 v7, v7, 0.5, -v12
	v_fma_f16 v10, -v6, v8, v13
	s_delay_alu instid0(VALU_DEP_4) | instskip(NEXT) | instid1(VALU_DEP_4)
	v_fma_f16 v12, -v6, v8, v5
                                        ; implicit-def: $vgpr5
                                        ; implicit-def: $vgpr13
	v_fmac_f16_e32 v14, v6, v11
	s_delay_alu instid0(VALU_DEP_4)
	v_fma_f16 v11, -v6, v11, v7
	v_dual_mov_b32 v8, v1 :: v_dual_mov_b32 v7, v0
	ds_store_b16 v27, v14
.LBB0_21:
	s_wait_alu 0xfffe
	s_and_not1_saveexec_b32 s1, s2
	s_cbranch_execz .LBB0_23
; %bb.22:
	v_dual_mov_b32 v10, 0 :: v_dual_mov_b32 v7, 0
	v_add_f16_e32 v6, v5, v13
	v_sub_f16_e32 v11, v13, v5
	v_mov_b32_e32 v8, 0
	ds_load_u16 v1, v10 offset:3302
	v_mov_b32_e32 v12, 0
	s_wait_dscnt 0x0
	v_xor_b32_e32 v1, 0x8000, v1
	ds_store_b16 v27, v6
	ds_store_b16 v10, v1 offset:3302
.LBB0_23:
	s_wait_alu 0xfffe
	s_or_b32 exec_lo, exec_lo, s1
	v_mov_b32_e32 v5, 0
	s_add_nc_u64 s[2:3], s[4:5], 0x199c
	v_perm_b32 v11, v12, v11, 0x5040100
	s_delay_alu instid0(VALU_DEP_2) | instskip(NEXT) | instid1(VALU_DEP_1)
	v_lshlrev_b64_e32 v[4:5], 2, v[4:5]
	v_add_co_u32 v4, s1, s4, v4
	s_wait_alu 0xf1ff
	s_delay_alu instid0(VALU_DEP_2) | instskip(SKIP_3) | instid1(VALU_DEP_1)
	v_add_co_ci_u32_e64 v5, s1, s5, v5, s1
	global_load_b32 v1, v[4:5], off offset:6556
	v_lshlrev_b64_e32 v[4:5], 2, v[7:8]
	s_wait_alu 0xfffe
	v_add_co_u32 v6, s1, s2, v4
	s_wait_alu 0xf1ff
	s_delay_alu instid0(VALU_DEP_2)
	v_add_co_ci_u32_e64 v7, s1, s3, v5, s1
	s_clause 0x3
	global_load_b32 v8, v[6:7], off offset:880
	global_load_b32 v13, v[6:7], off offset:1320
	global_load_b32 v14, v[6:7], off offset:1760
	global_load_b32 v17, v[6:7], off offset:2200
	ds_store_b16 v27, v10 offset:2
	ds_store_b32 v9, v11 offset:6600
	ds_load_b32 v10, v16
	ds_load_b32 v11, v9 offset:6160
	global_load_b32 v12, v[6:7], off offset:2640
	s_wait_dscnt 0x0
	v_pk_add_f16 v18, v10, v11 neg_lo:[0,1] neg_hi:[0,1]
	v_pk_add_f16 v10, v10, v11
	s_delay_alu instid0(VALU_DEP_1) | instskip(SKIP_1) | instid1(VALU_DEP_2)
	v_bfi_b32 v11, 0xffff, v18, v10
	v_bfi_b32 v10, 0xffff, v10, v18
	v_pk_mul_f16 v11, v11, 0.5 op_sel_hi:[1,0]
	s_delay_alu instid0(VALU_DEP_2) | instskip(SKIP_1) | instid1(VALU_DEP_1)
	v_pk_mul_f16 v10, v10, 0.5 op_sel_hi:[1,0]
	s_wait_loadcnt 0x5
	v_pk_fma_f16 v18, v1, v11, v10 op_sel:[1,0,0]
	v_pk_mul_f16 v19, v1, v11 op_sel_hi:[0,1]
	v_pk_fma_f16 v20, v1, v11, v10 op_sel:[1,0,0] neg_lo:[1,0,0] neg_hi:[1,0,0]
	v_pk_fma_f16 v1, v1, v11, v10 op_sel:[1,0,0] neg_lo:[0,0,1] neg_hi:[0,0,1]
	s_delay_alu instid0(VALU_DEP_3) | instskip(SKIP_1) | instid1(VALU_DEP_4)
	v_pk_add_f16 v10, v18, v19 op_sel:[0,1] op_sel_hi:[1,0]
	v_pk_add_f16 v11, v18, v19 op_sel:[0,1] op_sel_hi:[1,0] neg_lo:[0,1] neg_hi:[0,1]
	v_pk_add_f16 v18, v20, v19 op_sel:[0,1] op_sel_hi:[1,0] neg_lo:[0,1] neg_hi:[0,1]
	s_delay_alu instid0(VALU_DEP_4) | instskip(NEXT) | instid1(VALU_DEP_3)
	v_pk_add_f16 v1, v1, v19 op_sel:[0,1] op_sel_hi:[1,0] neg_lo:[0,1] neg_hi:[0,1]
	v_bfi_b32 v10, 0xffff, v10, v11
	s_delay_alu instid0(VALU_DEP_2)
	v_bfi_b32 v1, 0xffff, v18, v1
	ds_store_b32 v16, v10
	ds_store_b32 v9, v1 offset:6160
	ds_load_b32 v1, v15 offset:880
	ds_load_b32 v10, v9 offset:5720
	s_wait_dscnt 0x0
	v_pk_add_f16 v11, v1, v10 neg_lo:[0,1] neg_hi:[0,1]
	v_pk_add_f16 v1, v1, v10
	s_delay_alu instid0(VALU_DEP_1) | instskip(SKIP_1) | instid1(VALU_DEP_2)
	v_bfi_b32 v10, 0xffff, v11, v1
	v_bfi_b32 v1, 0xffff, v1, v11
	v_pk_mul_f16 v10, v10, 0.5 op_sel_hi:[1,0]
	s_delay_alu instid0(VALU_DEP_2) | instskip(SKIP_1) | instid1(VALU_DEP_2)
	v_pk_mul_f16 v1, v1, 0.5 op_sel_hi:[1,0]
	s_wait_loadcnt 0x4
	v_pk_mul_f16 v16, v8, v10 op_sel_hi:[0,1]
	s_delay_alu instid0(VALU_DEP_2) | instskip(SKIP_2) | instid1(VALU_DEP_3)
	v_pk_fma_f16 v11, v8, v10, v1 op_sel:[1,0,0]
	v_pk_fma_f16 v18, v8, v10, v1 op_sel:[1,0,0] neg_lo:[1,0,0] neg_hi:[1,0,0]
	v_pk_fma_f16 v1, v8, v10, v1 op_sel:[1,0,0] neg_lo:[0,0,1] neg_hi:[0,0,1]
	v_pk_add_f16 v8, v11, v16 op_sel:[0,1] op_sel_hi:[1,0]
	v_pk_add_f16 v10, v11, v16 op_sel:[0,1] op_sel_hi:[1,0] neg_lo:[0,1] neg_hi:[0,1]
	s_delay_alu instid0(VALU_DEP_4) | instskip(NEXT) | instid1(VALU_DEP_4)
	v_pk_add_f16 v11, v18, v16 op_sel:[0,1] op_sel_hi:[1,0] neg_lo:[0,1] neg_hi:[0,1]
	v_pk_add_f16 v1, v1, v16 op_sel:[0,1] op_sel_hi:[1,0] neg_lo:[0,1] neg_hi:[0,1]
	s_delay_alu instid0(VALU_DEP_3) | instskip(NEXT) | instid1(VALU_DEP_2)
	v_bfi_b32 v8, 0xffff, v8, v10
	v_bfi_b32 v1, 0xffff, v11, v1
	ds_store_b32 v15, v8 offset:880
	ds_store_b32 v9, v1 offset:5720
	ds_load_b32 v1, v15 offset:1320
	ds_load_b32 v8, v9 offset:5280
	s_wait_dscnt 0x0
	v_pk_add_f16 v10, v1, v8 neg_lo:[0,1] neg_hi:[0,1]
	v_pk_add_f16 v1, v1, v8
	s_delay_alu instid0(VALU_DEP_1) | instskip(SKIP_1) | instid1(VALU_DEP_2)
	v_bfi_b32 v8, 0xffff, v10, v1
	v_bfi_b32 v1, 0xffff, v1, v10
	v_pk_mul_f16 v8, v8, 0.5 op_sel_hi:[1,0]
	s_delay_alu instid0(VALU_DEP_2) | instskip(SKIP_1) | instid1(VALU_DEP_2)
	v_pk_mul_f16 v1, v1, 0.5 op_sel_hi:[1,0]
	s_wait_loadcnt 0x3
	v_pk_mul_f16 v11, v13, v8 op_sel_hi:[0,1]
	s_delay_alu instid0(VALU_DEP_2) | instskip(SKIP_2) | instid1(VALU_DEP_3)
	v_pk_fma_f16 v10, v13, v8, v1 op_sel:[1,0,0]
	v_pk_fma_f16 v16, v13, v8, v1 op_sel:[1,0,0] neg_lo:[1,0,0] neg_hi:[1,0,0]
	v_pk_fma_f16 v1, v13, v8, v1 op_sel:[1,0,0] neg_lo:[0,0,1] neg_hi:[0,0,1]
	v_pk_add_f16 v8, v10, v11 op_sel:[0,1] op_sel_hi:[1,0]
	v_pk_add_f16 v10, v10, v11 op_sel:[0,1] op_sel_hi:[1,0] neg_lo:[0,1] neg_hi:[0,1]
	s_delay_alu instid0(VALU_DEP_4) | instskip(NEXT) | instid1(VALU_DEP_4)
	v_pk_add_f16 v13, v16, v11 op_sel:[0,1] op_sel_hi:[1,0] neg_lo:[0,1] neg_hi:[0,1]
	v_pk_add_f16 v1, v1, v11 op_sel:[0,1] op_sel_hi:[1,0] neg_lo:[0,1] neg_hi:[0,1]
	s_delay_alu instid0(VALU_DEP_3) | instskip(NEXT) | instid1(VALU_DEP_2)
	v_bfi_b32 v8, 0xffff, v8, v10
	v_bfi_b32 v1, 0xffff, v13, v1
	ds_store_b32 v15, v8 offset:1320
	;; [unrolled: 27-line block ×5, first 2 shown]
	ds_store_b32 v9, v1 offset:3960
	s_and_saveexec_b32 s1, s0
	s_cbranch_execz .LBB0_25
; %bb.24:
	global_load_b32 v1, v[6:7], off offset:3080
	ds_load_b32 v6, v27 offset:3080
	ds_load_b32 v7, v9 offset:3520
	s_wait_dscnt 0x0
	v_pk_add_f16 v8, v6, v7 neg_lo:[0,1] neg_hi:[0,1]
	v_pk_add_f16 v6, v6, v7
	s_delay_alu instid0(VALU_DEP_1) | instskip(SKIP_1) | instid1(VALU_DEP_2)
	v_bfi_b32 v7, 0xffff, v8, v6
	v_bfi_b32 v6, 0xffff, v6, v8
	v_pk_mul_f16 v7, v7, 0.5 op_sel_hi:[1,0]
	s_delay_alu instid0(VALU_DEP_2) | instskip(SKIP_1) | instid1(VALU_DEP_1)
	v_pk_mul_f16 v6, v6, 0.5 op_sel_hi:[1,0]
	s_wait_loadcnt 0x0
	v_pk_fma_f16 v8, v1, v7, v6 op_sel:[1,0,0]
	v_pk_mul_f16 v10, v1, v7 op_sel_hi:[0,1]
	v_pk_fma_f16 v11, v1, v7, v6 op_sel:[1,0,0] neg_lo:[1,0,0] neg_hi:[1,0,0]
	v_pk_fma_f16 v1, v1, v7, v6 op_sel:[1,0,0] neg_lo:[0,0,1] neg_hi:[0,0,1]
	s_delay_alu instid0(VALU_DEP_3) | instskip(SKIP_1) | instid1(VALU_DEP_4)
	v_pk_add_f16 v6, v8, v10 op_sel:[0,1] op_sel_hi:[1,0]
	v_pk_add_f16 v7, v8, v10 op_sel:[0,1] op_sel_hi:[1,0] neg_lo:[0,1] neg_hi:[0,1]
	v_pk_add_f16 v8, v11, v10 op_sel:[0,1] op_sel_hi:[1,0] neg_lo:[0,1] neg_hi:[0,1]
	s_delay_alu instid0(VALU_DEP_4) | instskip(NEXT) | instid1(VALU_DEP_3)
	v_pk_add_f16 v1, v1, v10 op_sel:[0,1] op_sel_hi:[1,0] neg_lo:[0,1] neg_hi:[0,1]
	v_bfi_b32 v6, 0xffff, v6, v7
	s_delay_alu instid0(VALU_DEP_2)
	v_bfi_b32 v1, 0xffff, v8, v1
	ds_store_b32 v27, v6 offset:3080
	ds_store_b32 v9, v1 offset:3520
.LBB0_25:
	s_wait_alu 0xfffe
	s_or_b32 exec_lo, exec_lo, s1
	global_wb scope:SCOPE_SE
	s_wait_dscnt 0x0
	s_barrier_signal -1
	s_barrier_wait -1
	global_inv scope:SCOPE_SE
	s_and_saveexec_b32 s0, vcc_lo
	s_cbranch_execz .LBB0_28
; %bb.26:
	v_add_nc_u32_e32 v14, 0xc00, v27
	v_add_nc_u32_e32 v1, 0x200, v27
	;; [unrolled: 1-line block ×6, first 2 shown]
	ds_load_2addr_b32 v[6:7], v27 offset1:110
	ds_load_2addr_b32 v[8:9], v1 offset0:92 offset1:202
	ds_load_2addr_b32 v[10:11], v10 offset0:56 offset1:166
	;; [unrolled: 1-line block ×6, first 2 shown]
	ds_load_b32 v20, v27 offset:6160
	v_add_co_u32 v1, vcc_lo, s8, v2
	s_wait_alu 0xfffd
	v_add_co_ci_u32_e32 v2, vcc_lo, s9, v3, vcc_lo
	s_delay_alu instid0(VALU_DEP_2) | instskip(SKIP_1) | instid1(VALU_DEP_2)
	v_add_co_u32 v3, vcc_lo, v1, v4
	s_wait_alu 0xfffd
	v_add_co_ci_u32_e32 v4, vcc_lo, v2, v5, vcc_lo
	v_cmp_eq_u32_e32 vcc_lo, 0x6d, v0
	s_wait_dscnt 0x7
	s_clause 0x1
	global_store_b32 v[3:4], v6, off
	global_store_b32 v[3:4], v7, off offset:440
	s_wait_dscnt 0x6
	s_clause 0x1
	global_store_b32 v[3:4], v8, off offset:880
	global_store_b32 v[3:4], v9, off offset:1320
	s_wait_dscnt 0x5
	s_clause 0x1
	global_store_b32 v[3:4], v10, off offset:1760
	;; [unrolled: 4-line block ×6, first 2 shown]
	global_store_b32 v[3:4], v19, off offset:5720
	s_wait_dscnt 0x0
	global_store_b32 v[3:4], v20, off offset:6160
	s_and_b32 exec_lo, exec_lo, vcc_lo
	s_cbranch_execz .LBB0_28
; %bb.27:
	v_mov_b32_e32 v0, 0
	ds_load_b32 v0, v0 offset:6600
	s_wait_dscnt 0x0
	global_store_b32 v[1:2], v0, off offset:6600
.LBB0_28:
	s_nop 0
	s_sendmsg sendmsg(MSG_DEALLOC_VGPRS)
	s_endpgm
	.section	.rodata,"a",@progbits
	.p2align	6, 0x0
	.amdhsa_kernel fft_rtc_fwd_len1650_factors_11_2_3_5_5_wgs_110_tpt_110_halfLds_half_ip_CI_unitstride_sbrr_R2C_dirReg
		.amdhsa_group_segment_fixed_size 0
		.amdhsa_private_segment_fixed_size 0
		.amdhsa_kernarg_size 88
		.amdhsa_user_sgpr_count 2
		.amdhsa_user_sgpr_dispatch_ptr 0
		.amdhsa_user_sgpr_queue_ptr 0
		.amdhsa_user_sgpr_kernarg_segment_ptr 1
		.amdhsa_user_sgpr_dispatch_id 0
		.amdhsa_user_sgpr_private_segment_size 0
		.amdhsa_wavefront_size32 1
		.amdhsa_uses_dynamic_stack 0
		.amdhsa_enable_private_segment 0
		.amdhsa_system_sgpr_workgroup_id_x 1
		.amdhsa_system_sgpr_workgroup_id_y 0
		.amdhsa_system_sgpr_workgroup_id_z 0
		.amdhsa_system_sgpr_workgroup_info 0
		.amdhsa_system_vgpr_workitem_id 0
		.amdhsa_next_free_vgpr 102
		.amdhsa_next_free_sgpr 32
		.amdhsa_reserve_vcc 1
		.amdhsa_float_round_mode_32 0
		.amdhsa_float_round_mode_16_64 0
		.amdhsa_float_denorm_mode_32 3
		.amdhsa_float_denorm_mode_16_64 3
		.amdhsa_fp16_overflow 0
		.amdhsa_workgroup_processor_mode 1
		.amdhsa_memory_ordered 1
		.amdhsa_forward_progress 0
		.amdhsa_round_robin_scheduling 0
		.amdhsa_exception_fp_ieee_invalid_op 0
		.amdhsa_exception_fp_denorm_src 0
		.amdhsa_exception_fp_ieee_div_zero 0
		.amdhsa_exception_fp_ieee_overflow 0
		.amdhsa_exception_fp_ieee_underflow 0
		.amdhsa_exception_fp_ieee_inexact 0
		.amdhsa_exception_int_div_zero 0
	.end_amdhsa_kernel
	.text
.Lfunc_end0:
	.size	fft_rtc_fwd_len1650_factors_11_2_3_5_5_wgs_110_tpt_110_halfLds_half_ip_CI_unitstride_sbrr_R2C_dirReg, .Lfunc_end0-fft_rtc_fwd_len1650_factors_11_2_3_5_5_wgs_110_tpt_110_halfLds_half_ip_CI_unitstride_sbrr_R2C_dirReg
                                        ; -- End function
	.section	.AMDGPU.csdata,"",@progbits
; Kernel info:
; codeLenInByte = 15800
; NumSgprs: 34
; NumVgprs: 102
; ScratchSize: 0
; MemoryBound: 0
; FloatMode: 240
; IeeeMode: 1
; LDSByteSize: 0 bytes/workgroup (compile time only)
; SGPRBlocks: 4
; VGPRBlocks: 12
; NumSGPRsForWavesPerEU: 34
; NumVGPRsForWavesPerEU: 102
; Occupancy: 12
; WaveLimiterHint : 1
; COMPUTE_PGM_RSRC2:SCRATCH_EN: 0
; COMPUTE_PGM_RSRC2:USER_SGPR: 2
; COMPUTE_PGM_RSRC2:TRAP_HANDLER: 0
; COMPUTE_PGM_RSRC2:TGID_X_EN: 1
; COMPUTE_PGM_RSRC2:TGID_Y_EN: 0
; COMPUTE_PGM_RSRC2:TGID_Z_EN: 0
; COMPUTE_PGM_RSRC2:TIDIG_COMP_CNT: 0
	.text
	.p2alignl 7, 3214868480
	.fill 96, 4, 3214868480
	.type	__hip_cuid_c58e481a6b63971c,@object ; @__hip_cuid_c58e481a6b63971c
	.section	.bss,"aw",@nobits
	.globl	__hip_cuid_c58e481a6b63971c
__hip_cuid_c58e481a6b63971c:
	.byte	0                               ; 0x0
	.size	__hip_cuid_c58e481a6b63971c, 1

	.ident	"AMD clang version 19.0.0git (https://github.com/RadeonOpenCompute/llvm-project roc-6.4.0 25133 c7fe45cf4b819c5991fe208aaa96edf142730f1d)"
	.section	".note.GNU-stack","",@progbits
	.addrsig
	.addrsig_sym __hip_cuid_c58e481a6b63971c
	.amdgpu_metadata
---
amdhsa.kernels:
  - .args:
      - .actual_access:  read_only
        .address_space:  global
        .offset:         0
        .size:           8
        .value_kind:     global_buffer
      - .offset:         8
        .size:           8
        .value_kind:     by_value
      - .actual_access:  read_only
        .address_space:  global
        .offset:         16
        .size:           8
        .value_kind:     global_buffer
      - .actual_access:  read_only
        .address_space:  global
        .offset:         24
        .size:           8
        .value_kind:     global_buffer
      - .offset:         32
        .size:           8
        .value_kind:     by_value
      - .actual_access:  read_only
        .address_space:  global
        .offset:         40
        .size:           8
        .value_kind:     global_buffer
      - .actual_access:  read_only
        .address_space:  global
        .offset:         48
        .size:           8
        .value_kind:     global_buffer
      - .offset:         56
        .size:           4
        .value_kind:     by_value
      - .actual_access:  read_only
        .address_space:  global
        .offset:         64
        .size:           8
        .value_kind:     global_buffer
      - .actual_access:  read_only
        .address_space:  global
        .offset:         72
        .size:           8
        .value_kind:     global_buffer
      - .address_space:  global
        .offset:         80
        .size:           8
        .value_kind:     global_buffer
    .group_segment_fixed_size: 0
    .kernarg_segment_align: 8
    .kernarg_segment_size: 88
    .language:       OpenCL C
    .language_version:
      - 2
      - 0
    .max_flat_workgroup_size: 110
    .name:           fft_rtc_fwd_len1650_factors_11_2_3_5_5_wgs_110_tpt_110_halfLds_half_ip_CI_unitstride_sbrr_R2C_dirReg
    .private_segment_fixed_size: 0
    .sgpr_count:     34
    .sgpr_spill_count: 0
    .symbol:         fft_rtc_fwd_len1650_factors_11_2_3_5_5_wgs_110_tpt_110_halfLds_half_ip_CI_unitstride_sbrr_R2C_dirReg.kd
    .uniform_work_group_size: 1
    .uses_dynamic_stack: false
    .vgpr_count:     102
    .vgpr_spill_count: 0
    .wavefront_size: 32
    .workgroup_processor_mode: 1
amdhsa.target:   amdgcn-amd-amdhsa--gfx1201
amdhsa.version:
  - 1
  - 2
...

	.end_amdgpu_metadata
